;; amdgpu-corpus repo=ROCm/rocFFT kind=compiled arch=gfx1201 opt=O3
	.text
	.amdgcn_target "amdgcn-amd-amdhsa--gfx1201"
	.amdhsa_code_object_version 6
	.protected	bluestein_single_fwd_len400_dim1_half_op_CI_CI ; -- Begin function bluestein_single_fwd_len400_dim1_half_op_CI_CI
	.globl	bluestein_single_fwd_len400_dim1_half_op_CI_CI
	.p2align	8
	.type	bluestein_single_fwd_len400_dim1_half_op_CI_CI,@function
bluestein_single_fwd_len400_dim1_half_op_CI_CI: ; @bluestein_single_fwd_len400_dim1_half_op_CI_CI
; %bb.0:
	s_load_b128 s[8:11], s[0:1], 0x28
	v_mul_u32_u24_e32 v1, 0x667, v0
	s_mov_b32 s2, exec_lo
	s_delay_alu instid0(VALU_DEP_1) | instskip(NEXT) | instid1(VALU_DEP_1)
	v_lshrrev_b32_e32 v1, 16, v1
	v_mad_co_u64_u32 v[20:21], null, ttmp9, 3, v[1:2]
	v_mov_b32_e32 v21, 0
	s_wait_kmcnt 0x0
	s_delay_alu instid0(VALU_DEP_1)
	v_cmpx_gt_u64_e64 s[8:9], v[20:21]
	s_cbranch_execz .LBB0_15
; %bb.1:
	s_clause 0x1
	s_load_b128 s[4:7], s[0:1], 0x18
	s_load_b64 s[16:17], s[0:1], 0x0
	v_mul_lo_u16 v1, v1, 40
	v_mul_hi_u32 v11, 0xaaaaaaab, v20
	s_delay_alu instid0(VALU_DEP_2) | instskip(NEXT) | instid1(VALU_DEP_2)
	v_sub_nc_u16 v7, v0, v1
	v_lshrrev_b32_e32 v11, 1, v11
	s_delay_alu instid0(VALU_DEP_2) | instskip(NEXT) | instid1(VALU_DEP_2)
	v_and_b32_e32 v40, 0xffff, v7
	v_lshl_add_u32 v11, v11, 1, v11
	s_wait_kmcnt 0x0
	s_load_b128 s[12:15], s[4:5], 0x0
	s_delay_alu instid0(VALU_DEP_1) | instskip(NEXT) | instid1(VALU_DEP_1)
	v_sub_nc_u32_e32 v11, v20, v11
	v_mul_u32_u24_e32 v11, 0x190, v11
	s_delay_alu instid0(VALU_DEP_1) | instskip(SKIP_4) | instid1(VALU_DEP_1)
	v_lshlrev_b32_e32 v49, 2, v11
	s_wait_kmcnt 0x0
	v_mad_co_u64_u32 v[0:1], null, s14, v20, 0
	v_mad_co_u64_u32 v[2:3], null, s12, v40, 0
	s_mul_u64 s[2:3], s[12:13], 0x64
	v_mad_co_u64_u32 v[4:5], null, s15, v20, v[1:2]
	s_delay_alu instid0(VALU_DEP_1) | instskip(NEXT) | instid1(VALU_DEP_3)
	v_mov_b32_e32 v1, v4
	v_mad_co_u64_u32 v[5:6], null, s13, v40, v[3:4]
	v_lshlrev_b32_e32 v25, 2, v40
	s_delay_alu instid0(VALU_DEP_3)
	v_lshlrev_b64_e32 v[0:1], 2, v[0:1]
	global_load_b32 v46, v25, s[16:17]
	v_mov_b32_e32 v3, v5
	s_clause 0x2
	global_load_b32 v32, v25, s[16:17] offset:1360
	global_load_b32 v41, v25, s[16:17] offset:1200
	;; [unrolled: 1-line block ×3, first 2 shown]
	v_add_co_u32 v0, vcc_lo, s10, v0
	v_add_co_ci_u32_e32 v1, vcc_lo, s11, v1, vcc_lo
	v_lshlrev_b64_e32 v[2:3], 2, v[2:3]
	s_lshl_b64 s[10:11], s[2:3], 2
	s_clause 0x3
	global_load_b32 v43, v25, s[16:17] offset:800
	global_load_b32 v36, v25, s[16:17] offset:560
	;; [unrolled: 1-line block ×4, first 2 shown]
	s_movk_i32 s2, 0xfefc
	s_mov_b32 s3, -1
	v_add_nc_u32_e32 v31, v25, v49
	v_add_co_u32 v0, vcc_lo, v0, v2
	s_wait_alu 0xfffd
	v_add_co_ci_u32_e32 v1, vcc_lo, v1, v3, vcc_lo
	s_mul_u64 s[2:3], s[12:13], s[2:3]
	s_wait_alu 0xfffe
	v_add_co_u32 v2, vcc_lo, v0, s10
	s_wait_alu 0xfffd
	v_add_co_ci_u32_e32 v3, vcc_lo, s11, v1, vcc_lo
	global_load_b32 v4, v[0:1], off
	s_lshl_b64 s[2:3], s[2:3], 2
	v_add_co_u32 v18, s12, s16, v25
	global_load_b32 v5, v[2:3], off
	v_add_co_u32 v0, vcc_lo, v2, s10
	s_wait_alu 0xfffd
	v_add_co_ci_u32_e32 v1, vcc_lo, s11, v3, vcc_lo
	s_wait_alu 0xf1ff
	v_add_co_ci_u32_e64 v19, null, s17, 0, s12
	global_load_b32 v6, v[0:1], off
	v_add_co_u32 v0, vcc_lo, v0, s10
	s_wait_alu 0xfffd
	v_add_co_ci_u32_e32 v1, vcc_lo, s11, v1, vcc_lo
	s_delay_alu instid0(VALU_DEP_2) | instskip(SKIP_1) | instid1(VALU_DEP_2)
	v_add_co_u32 v2, vcc_lo, v0, s2
	s_wait_alu 0xfffd
	v_add_co_ci_u32_e32 v3, vcc_lo, s3, v1, vcc_lo
	s_clause 0x1
	global_load_b32 v8, v[0:1], off
	global_load_b32 v9, v[2:3], off
	v_add_co_u32 v0, vcc_lo, v2, s10
	s_wait_alu 0xfffd
	v_add_co_ci_u32_e32 v1, vcc_lo, s11, v3, vcc_lo
	s_delay_alu instid0(VALU_DEP_2) | instskip(SKIP_1) | instid1(VALU_DEP_2)
	v_add_co_u32 v2, vcc_lo, v0, s10
	s_wait_alu 0xfffd
	v_add_co_ci_u32_e32 v3, vcc_lo, s11, v1, vcc_lo
	global_load_b32 v10, v[0:1], off
	v_add_co_u32 v0, vcc_lo, v2, s10
	s_wait_alu 0xfffd
	v_add_co_ci_u32_e32 v1, vcc_lo, s11, v3, vcc_lo
	global_load_b32 v2, v[2:3], off
	global_load_b32 v3, v[0:1], off
	s_load_b64 s[8:9], s[0:1], 0x38
	s_load_b128 s[4:7], s[6:7], 0x0
	v_cmp_gt_u16_e32 vcc_lo, 20, v7
	s_wait_loadcnt 0xe
	v_lshrrev_b32_e32 v33, 16, v32
	v_lshrrev_b32_e32 v48, 16, v46
	s_wait_loadcnt 0xd
	v_lshrrev_b32_e32 v42, 16, v41
	s_wait_loadcnt 0xc
	v_lshrrev_b32_e32 v35, 16, v34
	s_wait_loadcnt 0xb
	v_lshrrev_b32_e32 v44, 16, v43
	s_wait_loadcnt 0xa
	v_lshrrev_b32_e32 v37, 16, v36
	s_wait_loadcnt 0x9
	v_lshrrev_b32_e32 v47, 16, v45
	s_wait_loadcnt 0x8
	v_lshrrev_b32_e32 v39, 16, v38
	s_wait_loadcnt 0x7
	v_lshrrev_b32_e32 v11, 16, v4
	v_mul_f16_e32 v12, v48, v4
	s_wait_loadcnt 0x6
	v_lshrrev_b32_e32 v14, 16, v5
	s_delay_alu instid0(VALU_DEP_3) | instskip(SKIP_2) | instid1(VALU_DEP_3)
	v_mul_f16_e32 v13, v48, v11
	v_mul_f16_e32 v15, v47, v5
	v_fma_f16 v11, v46, v11, -v12
	v_fmac_f16_e32 v13, v46, v4
	v_mul_f16_e32 v4, v47, v14
	s_wait_loadcnt 0x5
	v_lshrrev_b32_e32 v12, 16, v6
	v_fma_f16 v14, v45, v14, -v15
	v_mul_f16_e32 v15, v44, v6
	v_pack_b32_f16 v11, v13, v11
	v_fmac_f16_e32 v4, v45, v5
	v_mul_f16_e32 v5, v44, v12
	s_delay_alu instid0(VALU_DEP_4) | instskip(NEXT) | instid1(VALU_DEP_3)
	v_fma_f16 v12, v43, v12, -v15
	v_pack_b32_f16 v4, v4, v14
	s_wait_loadcnt 0x4
	v_lshrrev_b32_e32 v13, 16, v8
	v_fmac_f16_e32 v5, v43, v6
	v_mul_f16_e32 v15, v42, v8
	s_wait_loadcnt 0x3
	v_lshrrev_b32_e32 v14, 16, v9
	v_mul_f16_e32 v16, v39, v9
	v_mul_f16_e32 v6, v42, v13
	v_pack_b32_f16 v5, v5, v12
	v_fma_f16 v13, v41, v13, -v15
	s_delay_alu instid0(VALU_DEP_4) | instskip(NEXT) | instid1(VALU_DEP_4)
	v_fma_f16 v12, v38, v14, -v16
	v_fmac_f16_e32 v6, v41, v8
	v_mul_f16_e32 v8, v39, v14
	s_wait_loadcnt 0x2
	v_lshrrev_b32_e32 v14, 16, v10
	v_mul_f16_e32 v15, v37, v10
	v_pack_b32_f16 v6, v6, v13
	v_fmac_f16_e32 v8, v38, v9
	ds_store_b32 v31, v4 offset:400
	ds_store_b32 v31, v5 offset:800
	;; [unrolled: 1-line block ×3, first 2 shown]
	s_wait_loadcnt 0x1
	v_lshrrev_b32_e32 v9, 16, v2
	s_wait_loadcnt 0x0
	v_lshrrev_b32_e32 v16, 16, v3
	v_mul_f16_e32 v13, v37, v14
	v_fma_f16 v14, v36, v14, -v15
	v_mul_f16_e32 v15, v35, v2
	v_mul_f16_e32 v17, v35, v9
	;; [unrolled: 1-line block ×4, first 2 shown]
	v_fmac_f16_e32 v13, v36, v10
	v_fma_f16 v9, v34, v9, -v15
	v_fmac_f16_e32 v17, v34, v2
	v_fma_f16 v2, v32, v16, -v21
	v_fmac_f16_e32 v22, v32, v3
	v_pack_b32_f16 v3, v8, v12
	v_pack_b32_f16 v4, v13, v14
	v_pack_b32_f16 v5, v17, v9
	s_delay_alu instid0(VALU_DEP_4)
	v_pack_b32_f16 v2, v22, v2
	ds_store_2addr_b32 v31, v11, v3 offset1:40
	ds_store_b32 v31, v4 offset:560
	ds_store_b32 v31, v5 offset:960
	;; [unrolled: 1-line block ×3, first 2 shown]
	s_and_saveexec_b32 s12, vcc_lo
	s_cbranch_execz .LBB0_3
; %bb.2:
	v_add_co_u32 v0, s2, v0, s2
	s_wait_alu 0xf1ff
	v_add_co_ci_u32_e64 v1, s2, s3, v1, s2
	s_delay_alu instid0(VALU_DEP_2) | instskip(SKIP_1) | instid1(VALU_DEP_2)
	v_add_co_u32 v2, s2, v0, s10
	s_wait_alu 0xf1ff
	v_add_co_ci_u32_e64 v3, s2, s11, v1, s2
	global_load_b32 v4, v[18:19], off offset:320
	global_load_b32 v5, v[0:1], off
	global_load_b32 v6, v[2:3], off
	v_add_co_u32 v0, s2, v2, s10
	s_wait_alu 0xf1ff
	v_add_co_ci_u32_e64 v1, s2, s11, v3, s2
	s_clause 0x2
	global_load_b32 v7, v[18:19], off offset:720
	global_load_b32 v8, v[18:19], off offset:1120
	;; [unrolled: 1-line block ×3, first 2 shown]
	v_add_co_u32 v2, s2, v0, s10
	s_wait_alu 0xf1ff
	v_add_co_ci_u32_e64 v3, s2, s11, v1, s2
	global_load_b32 v0, v[0:1], off
	global_load_b32 v1, v[2:3], off
	s_wait_loadcnt 0x7
	v_lshrrev_b32_e32 v2, 16, v4
	s_wait_loadcnt 0x6
	v_lshrrev_b32_e32 v3, 16, v5
	;; [unrolled: 2-line block ×4, first 2 shown]
	v_mul_f16_e32 v11, v2, v5
	v_mul_f16_e32 v2, v2, v3
	s_wait_loadcnt 0x3
	v_lshrrev_b32_e32 v12, 16, v8
	s_wait_loadcnt 0x2
	v_lshrrev_b32_e32 v13, 16, v9
	v_fma_f16 v3, v4, v3, -v11
	v_mul_f16_e32 v11, v10, v6
	v_fmac_f16_e32 v2, v4, v5
	s_wait_loadcnt 0x1
	v_lshrrev_b32_e32 v4, 16, v0
	v_mul_f16_e32 v5, v10, v14
	s_wait_loadcnt 0x0
	v_lshrrev_b32_e32 v10, 16, v1
	v_fma_f16 v11, v7, v14, -v11
	v_mul_f16_e32 v14, v12, v0
	v_mul_f16_e32 v12, v12, v4
	;; [unrolled: 1-line block ×4, first 2 shown]
	v_fmac_f16_e32 v5, v7, v6
	v_fma_f16 v4, v8, v4, -v14
	v_fmac_f16_e32 v12, v8, v0
	v_fma_f16 v0, v9, v10, -v15
	v_fmac_f16_e32 v13, v9, v1
	v_pack_b32_f16 v1, v2, v3
	v_pack_b32_f16 v2, v5, v11
	;; [unrolled: 1-line block ×3, first 2 shown]
	v_add_nc_u32_e32 v4, 0x400, v31
	v_pack_b32_f16 v0, v13, v0
	ds_store_2addr_b32 v31, v1, v2 offset0:80 offset1:180
	ds_store_2addr_b32 v4, v3, v0 offset0:24 offset1:124
.LBB0_3:
	s_wait_alu 0xfffe
	s_or_b32 exec_lo, exec_lo, s12
	v_add_nc_u32_e32 v7, 0x400, v31
	global_wb scope:SCOPE_SE
	s_wait_dscnt 0x0
	s_wait_kmcnt 0x0
	s_barrier_signal -1
	s_barrier_wait -1
	global_inv scope:SCOPE_SE
	ds_load_2addr_b32 v[0:1], v31 offset1:40
	ds_load_2addr_b32 v[2:3], v31 offset0:100 offset1:140
	ds_load_2addr_b32 v[8:9], v31 offset0:200 offset1:240
	;; [unrolled: 1-line block ×3, first 2 shown]
                                        ; implicit-def: $vgpr4
                                        ; implicit-def: $vgpr6
	s_and_saveexec_b32 s2, vcc_lo
	s_cbranch_execz .LBB0_5
; %bb.4:
	ds_load_2addr_b32 v[4:5], v31 offset0:80 offset1:180
	ds_load_2addr_b32 v[6:7], v7 offset0:24 offset1:124
.LBB0_5:
	s_wait_alu 0xfffe
	s_or_b32 exec_lo, exec_lo, s2
	s_wait_dscnt 0x0
	v_pk_add_f16 v10, v2, v10 neg_lo:[0,1] neg_hi:[0,1]
	v_pk_add_f16 v8, v0, v8 neg_lo:[0,1] neg_hi:[0,1]
	;; [unrolled: 1-line block ×5, first 2 shown]
	v_lshrrev_b32_e32 v9, 16, v10
	v_pk_add_f16 v7, v5, v7 neg_lo:[0,1] neg_hi:[0,1]
	s_load_b64 s[0:1], s[0:1], 0x8
	v_lshrrev_b32_e32 v13, 16, v8
	v_pk_fma_f16 v4, v4, 2.0, v6 op_sel_hi:[1,0,1] neg_lo:[0,0,1] neg_hi:[0,0,1]
	v_sub_f16_e32 v16, v8, v9
	v_lshrrev_b32_e32 v9, 16, v12
	v_pk_fma_f16 v5, v5, 2.0, v7 op_sel_hi:[1,0,1] neg_lo:[0,0,1] neg_hi:[0,0,1]
	v_lshrrev_b32_e32 v15, 16, v11
	v_add_f16_e32 v17, v13, v10
	v_pk_fma_f16 v0, v0, 2.0, v8 op_sel_hi:[1,0,1] neg_lo:[0,0,1] neg_hi:[0,0,1]
	v_add_f16_e32 v21, v9, v11
	v_pk_fma_f16 v2, v2, 2.0, v10 op_sel_hi:[1,0,1] neg_lo:[0,0,1] neg_hi:[0,0,1]
	v_sub_f16_e32 v15, v12, v15
	v_pk_add_f16 v22, v6, v7 op_sel:[0,1] op_sel_hi:[1,0] neg_lo:[0,1] neg_hi:[0,1]
	v_pk_add_f16 v55, v6, v7 op_sel:[0,1] op_sel_hi:[1,0]
	v_fma_f16 v26, v9, 2.0, -v21
	v_pk_add_f16 v9, v4, v5 neg_lo:[0,1] neg_hi:[0,1]
	v_lshlrev_b16 v5, 2, v40
	v_pk_fma_f16 v7, v1, 2.0, v12 op_sel_hi:[1,0,1] neg_lo:[0,0,1] neg_hi:[0,0,1]
	v_pk_fma_f16 v1, v3, 2.0, v11 op_sel_hi:[1,0,1] neg_lo:[0,0,1] neg_hi:[0,0,1]
	v_add_co_u32 v14, null, 0x50, v40
	v_fma_f16 v23, v8, 2.0, -v16
	v_fma_f16 v13, v13, 2.0, -v17
	v_and_b32_e32 v5, 0xffff, v5
	v_pk_add_f16 v2, v0, v2 neg_lo:[0,1] neg_hi:[0,1]
	v_fma_f16 v24, v12, 2.0, -v15
	v_pk_add_f16 v12, v7, v1 neg_lo:[0,1] neg_hi:[0,1]
	v_pack_b32_f16 v3, v16, v17
	v_lshl_add_u32 v53, v5, 2, v49
	v_pk_fma_f16 v0, v0, 2.0, v2 op_sel_hi:[1,0,1] neg_lo:[0,0,1] neg_hi:[0,0,1]
	v_pack_b32_f16 v1, v23, v13
	v_lshl_add_u32 v56, v40, 4, v49
	v_lshl_add_u32 v52, v14, 4, v49
	v_pk_fma_f16 v10, v7, 2.0, v12 op_sel_hi:[1,0,1] neg_lo:[0,0,1] neg_hi:[0,0,1]
	v_pack_b32_f16 v13, v15, v21
	v_pack_b32_f16 v11, v24, v26
	global_wb scope:SCOPE_SE
	s_wait_kmcnt 0x0
	s_barrier_signal -1
	s_barrier_wait -1
	global_inv scope:SCOPE_SE
	ds_store_b128 v53, v[0:3]
	ds_store_b128 v56, v[10:13] offset:640
	s_and_saveexec_b32 s2, vcc_lo
	s_cbranch_execz .LBB0_7
; %bb.6:
	v_bfi_b32 v10, 0xffff, v22, v55
	v_pk_fma_f16 v7, v4, 2.0, v9 op_sel_hi:[1,0,1] neg_lo:[0,0,1] neg_hi:[0,0,1]
	s_delay_alu instid0(VALU_DEP_2)
	v_pk_fma_f16 v8, v6, 2.0, v10 op_sel_hi:[1,0,1] neg_lo:[0,0,1] neg_hi:[0,0,1]
	ds_store_b128 v52, v[7:10]
.LBB0_7:
	s_wait_alu 0xfffe
	s_or_b32 exec_lo, exec_lo, s2
	v_and_b32_e32 v8, 3, v40
	global_wb scope:SCOPE_SE
	s_wait_dscnt 0x0
	s_barrier_signal -1
	s_barrier_wait -1
	global_inv scope:SCOPE_SE
	v_mad_co_u64_u32 v[10:11], null, v8, 36, s[0:1]
	v_add_nc_u32_e32 v26, 0x200, v31
	v_add_nc_u32_e32 v29, 0x400, v31
	v_lshrrev_b32_e32 v21, 2, v40
	v_mad_co_u64_u32 v[27:28], null, v40, 36, s[0:1]
	s_add_nc_u64 s[0:1], s[16:17], 0x640
	s_clause 0x2
	global_load_b128 v[4:7], v[10:11], off
	global_load_b128 v[0:3], v[10:11], off offset:16
	global_load_b32 v51, v[10:11], off offset:32
	ds_load_2addr_b32 v[10:11], v31 offset1:40
	ds_load_2addr_b32 v[12:13], v31 offset0:80 offset1:120
	ds_load_2addr_b32 v[14:15], v31 offset0:160 offset1:200
	;; [unrolled: 1-line block ×4, first 2 shown]
	v_mul_u32_u24_e32 v21, 40, v21
	global_wb scope:SCOPE_SE
	s_wait_loadcnt_dscnt 0x0
	s_barrier_signal -1
	s_barrier_wait -1
	global_inv scope:SCOPE_SE
	v_or_b32_e32 v8, v21, v8
	s_delay_alu instid0(VALU_DEP_1)
	v_lshl_add_u32 v50, v8, 2, v49
	v_lshrrev_b32_e32 v21, 16, v11
	v_lshrrev_b32_e32 v30, 16, v12
	;; [unrolled: 1-line block ×19, first 2 shown]
	v_mul_f16_e32 v72, v21, v64
	v_mul_f16_e32 v73, v11, v64
	;; [unrolled: 1-line block ×18, first 2 shown]
	v_fma_f16 v11, v11, v4, -v72
	v_fmac_f16_e32 v73, v21, v4
	v_fma_f16 v12, v12, v5, -v74
	v_fmac_f16_e32 v75, v30, v5
	;; [unrolled: 2-line block ×9, first 2 shown]
	v_add_f16_e32 v24, v10, v12
	v_sub_f16_e32 v67, v12, v14
	v_sub_f16_e32 v68, v21, v16
	;; [unrolled: 1-line block ×4, first 2 shown]
	v_add_f16_e32 v72, v8, v75
	v_sub_f16_e32 v78, v75, v79
	v_sub_f16_e32 v80, v87, v83
	v_add_f16_e32 v86, v11, v13
	v_add_f16_e32 v88, v15, v17
	;; [unrolled: 1-line block ×7, first 2 shown]
	v_sub_f16_e32 v54, v75, v87
	v_sub_f16_e32 v66, v79, v83
	v_add_f16_e32 v69, v12, v21
	v_add_f16_e32 v74, v79, v83
	v_sub_f16_e32 v76, v14, v16
	v_add_f16_e32 v82, v75, v87
	v_sub_f16_e32 v75, v79, v75
	v_sub_f16_e32 v90, v77, v89
	;; [unrolled: 1-line block ×6, first 2 shown]
	v_add_f16_e32 v14, v24, v14
	v_add_f16_e32 v24, v67, v68
	;; [unrolled: 1-line block ×6, first 2 shown]
	v_fma_f16 v72, -0.5, v88, v11
	v_add_f16_e32 v78, v97, v81
	v_fma_f16 v79, -0.5, v98, v73
	v_sub_f16_e32 v84, v83, v87
	v_sub_f16_e32 v91, v81, v85
	v_fmac_f16_e32 v11, -0.5, v94
	v_fmac_f16_e32 v73, -0.5, v102
	v_sub_f16_e32 v93, v23, v17
	v_sub_f16_e32 v96, v17, v23
	;; [unrolled: 1-line block ×5, first 2 shown]
	v_fma_f16 v30, -0.5, v30, v10
	v_fmac_f16_e32 v10, -0.5, v69
	v_fma_f16 v69, -0.5, v74, v8
	v_fmac_f16_e32 v8, -0.5, v82
	v_add_f16_e32 v15, v15, v17
	v_fmamk_f16 v17, v90, 0x3b9c, v72
	v_add_f16_e32 v78, v78, v85
	v_fmamk_f16 v85, v13, 0xbb9c, v79
	v_sub_f16_e32 v77, v81, v77
	v_add_f16_e32 v71, v75, v84
	v_fmamk_f16 v84, v91, 0xbb9c, v11
	v_fmac_f16_e32 v11, 0x3b9c, v91
	v_fmamk_f16 v86, v99, 0x3b9c, v73
	v_fmac_f16_e32 v73, 0xbb9c, v99
	v_sub_f16_e32 v12, v12, v21
	v_fmac_f16_e32 v72, 0xbb9c, v90
	v_fmac_f16_e32 v79, 0x3b9c, v13
	v_add_f16_e32 v74, v92, v93
	v_add_f16_e32 v80, v100, v101
	;; [unrolled: 1-line block ×4, first 2 shown]
	v_fmamk_f16 v83, v76, 0x3b9c, v8
	v_fmac_f16_e32 v8, 0xbb9c, v76
	v_fmac_f16_e32 v17, 0x38b4, v91
	;; [unrolled: 1-line block ×3, first 2 shown]
	v_add_f16_e32 v75, v95, v96
	v_add_f16_e32 v77, v77, v103
	v_fmamk_f16 v16, v54, 0x3b9c, v30
	v_fmac_f16_e32 v30, 0xbb9c, v54
	v_fmamk_f16 v81, v66, 0xbb9c, v10
	v_fmac_f16_e32 v10, 0x3b9c, v66
	v_fmac_f16_e32 v84, 0x38b4, v90
	v_fmac_f16_e32 v11, 0xb8b4, v90
	v_fmac_f16_e32 v86, 0xb8b4, v13
	v_fmac_f16_e32 v73, 0x38b4, v13
	v_fmamk_f16 v82, v12, 0xbb9c, v69
	v_fmac_f16_e32 v69, 0x3b9c, v12
	v_fmac_f16_e32 v72, 0xb8b4, v91
	v_fmac_f16_e32 v79, 0x38b4, v99
	v_add_f16_e32 v14, v14, v21
	v_add_f16_e32 v21, v68, v87
	v_fmac_f16_e32 v83, 0xb8b4, v12
	v_fmac_f16_e32 v8, 0x38b4, v12
	v_add_f16_e32 v12, v15, v23
	v_add_f16_e32 v15, v78, v89
	v_fmac_f16_e32 v17, 0x34f2, v74
	v_fmac_f16_e32 v85, 0x34f2, v80
	;; [unrolled: 1-line block ×14, first 2 shown]
	v_add_f16_e32 v13, v14, v12
	v_add_f16_e32 v23, v21, v15
	v_sub_f16_e32 v12, v14, v12
	v_sub_f16_e32 v14, v21, v15
	v_mul_f16_e32 v15, 0x38b4, v85
	v_mul_f16_e32 v66, 0xb8b4, v17
	v_fmac_f16_e32 v16, 0x34f2, v24
	v_fmac_f16_e32 v30, 0x34f2, v24
	v_fmac_f16_e32 v81, 0x34f2, v67
	v_fmac_f16_e32 v10, 0x34f2, v67
	v_mul_f16_e32 v21, 0x3b9c, v86
	v_mul_f16_e32 v24, 0x34f2, v11
	;; [unrolled: 1-line block ×4, first 2 shown]
	v_fmac_f16_e32 v82, 0x34f2, v70
	v_fmac_f16_e32 v69, 0x34f2, v70
	v_mul_f16_e32 v54, 0x3a79, v72
	v_mul_f16_e32 v70, 0x3a79, v79
	v_fmac_f16_e32 v15, 0x3a79, v17
	v_fmac_f16_e32 v66, 0x3a79, v85
	v_fmac_f16_e32 v83, 0x34f2, v71
	v_fmac_f16_e32 v8, 0x34f2, v71
	v_pack_b32_f16 v12, v12, v14
	v_fmac_f16_e32 v21, 0x34f2, v84
	v_fma_f16 v14, v73, 0x3b9c, -v24
	v_fmac_f16_e32 v67, 0x34f2, v86
	v_fma_f16 v11, v11, 0xbb9c, -v68
	v_pack_b32_f16 v13, v13, v23
	v_fma_f16 v17, v79, 0x38b4, -v54
	v_fma_f16 v23, v72, 0xb8b4, -v70
	v_add_f16_e32 v24, v16, v15
	v_add_f16_e32 v71, v82, v66
	;; [unrolled: 1-line block ×8, first 2 shown]
	v_sub_f16_e32 v15, v16, v15
	v_sub_f16_e32 v16, v81, v21
	;; [unrolled: 1-line block ×8, first 2 shown]
	v_pack_b32_f16 v23, v24, v71
	v_pack_b32_f16 v24, v54, v72
	;; [unrolled: 1-line block ×8, first 2 shown]
	ds_store_2addr_b32 v50, v13, v23 offset1:4
	ds_store_2addr_b32 v50, v24, v30 offset0:8 offset1:12
	ds_store_2addr_b32 v50, v54, v12 offset0:16 offset1:20
	;; [unrolled: 1-line block ×4, first 2 shown]
	global_wb scope:SCOPE_SE
	s_wait_dscnt 0x0
	s_barrier_signal -1
	s_barrier_wait -1
	global_inv scope:SCOPE_SE
	s_clause 0x2
	global_load_b128 v[14:17], v[27:28], off offset:144
	global_load_b128 v[10:13], v[27:28], off offset:160
	global_load_b32 v54, v[27:28], off offset:176
	ds_load_2addr_b32 v[23:24], v31 offset1:40
	ds_load_2addr_b32 v[27:28], v31 offset0:80 offset1:120
	ds_load_2addr_b32 v[75:76], v31 offset0:160 offset1:200
	;; [unrolled: 1-line block ×4, first 2 shown]
	s_wait_dscnt 0x4
	v_lshrrev_b32_e32 v8, 16, v24
	s_wait_dscnt 0x3
	v_lshrrev_b32_e32 v21, 16, v27
	s_wait_dscnt 0x2
	v_lshrrev_b32_e32 v82, 16, v75
	v_lshrrev_b32_e32 v83, 16, v76
	s_wait_dscnt 0x1
	v_lshrrev_b32_e32 v84, 16, v77
	v_lshrrev_b32_e32 v85, 16, v78
	s_wait_dscnt 0x0
	v_lshrrev_b32_e32 v86, 16, v79
	v_lshrrev_b32_e32 v81, 16, v28
	;; [unrolled: 1-line block ×4, first 2 shown]
	s_wait_loadcnt 0x2
	v_lshrrev_b32_e32 v74, 16, v14
	v_lshrrev_b32_e32 v73, 16, v15
	;; [unrolled: 1-line block ×3, first 2 shown]
	s_wait_loadcnt 0x1
	v_lshrrev_b32_e32 v70, 16, v10
	v_lshrrev_b32_e32 v69, 16, v11
	;; [unrolled: 1-line block ×5, first 2 shown]
	s_wait_loadcnt 0x0
	v_lshrrev_b32_e32 v66, 16, v54
	v_mul_f16_e32 v88, v8, v74
	v_mul_f16_e32 v89, v24, v74
	;; [unrolled: 1-line block ×18, first 2 shown]
	v_fma_f16 v27, v27, v15, -v90
	v_fmac_f16_e32 v89, v8, v14
	v_fmac_f16_e32 v91, v21, v15
	v_fma_f16 v8, v24, v14, -v88
	v_fma_f16 v21, v75, v17, -v94
	v_fmac_f16_e32 v95, v82, v17
	v_fma_f16 v24, v76, v10, -v96
	v_fmac_f16_e32 v97, v83, v10
	;; [unrolled: 2-line block ×7, first 2 shown]
	v_add_f16_e32 v80, v21, v75
	v_sub_f16_e32 v81, v27, v21
	v_sub_f16_e32 v82, v77, v75
	v_add_f16_e32 v83, v27, v77
	v_sub_f16_e32 v84, v21, v27
	v_sub_f16_e32 v85, v75, v77
	;; [unrolled: 1-line block ×6, first 2 shown]
	v_add_f16_e32 v98, v24, v76
	v_add_f16_e32 v111, v97, v101
	;; [unrolled: 1-line block ×10, first 2 shown]
	v_sub_f16_e32 v100, v28, v24
	v_sub_f16_e32 v102, v78, v76
	;; [unrolled: 1-line block ×7, first 2 shown]
	v_add_f16_e32 v81, v81, v82
	v_fma_f16 v80, -0.5, v80, v23
	v_fmac_f16_e32 v23, -0.5, v83
	v_add_f16_e32 v82, v84, v85
	v_add_f16_e32 v83, v88, v90
	;; [unrolled: 1-line block ×3, first 2 shown]
	v_fma_f16 v88, -0.5, v98, v8
	v_fma_f16 v94, -0.5, v111, v89
	v_sub_f16_e32 v116, v21, v75
	v_sub_f16_e32 v118, v24, v76
	;; [unrolled: 1-line block ×3, first 2 shown]
	v_fmac_f16_e32 v8, -0.5, v104
	v_fmac_f16_e32 v89, -0.5, v112
	v_add_f16_e32 v21, v79, v21
	v_add_f16_e32 v79, v86, v95
	;; [unrolled: 1-line block ×4, first 2 shown]
	v_sub_f16_e32 v110, v105, v101
	v_sub_f16_e32 v91, v91, v103
	v_fma_f16 v84, -0.5, v87, v30
	v_fmac_f16_e32 v30, -0.5, v92
	v_add_f16_e32 v87, v100, v102
	v_fmamk_f16 v98, v93, 0x3b9c, v88
	v_fmamk_f16 v100, v28, 0xbb9c, v94
	v_sub_f16_e32 v108, v76, v78
	v_sub_f16_e32 v115, v101, v105
	;; [unrolled: 1-line block ×4, first 2 shown]
	v_add_f16_e32 v21, v21, v75
	v_add_f16_e32 v75, v79, v99
	;; [unrolled: 1-line block ×4, first 2 shown]
	v_fmamk_f16 v99, v119, 0xbb9c, v8
	v_fmac_f16_e32 v8, 0x3b9c, v119
	v_fmamk_f16 v101, v118, 0x3b9c, v89
	v_fmac_f16_e32 v89, 0xbb9c, v118
	v_fmac_f16_e32 v88, 0xbb9c, v93
	;; [unrolled: 1-line block ×3, first 2 shown]
	v_add_f16_e32 v92, v109, v110
	v_fmamk_f16 v79, v91, 0x3b9c, v80
	v_fmac_f16_e32 v80, 0xbb9c, v91
	v_fmamk_f16 v97, v116, 0x3b9c, v30
	v_fmac_f16_e32 v30, 0xbb9c, v116
	v_fmac_f16_e32 v98, 0x38b4, v119
	;; [unrolled: 1-line block ×3, first 2 shown]
	v_add_f16_e32 v90, v107, v108
	v_add_f16_e32 v95, v114, v115
	v_fmamk_f16 v86, v117, 0xbb9c, v23
	v_fmac_f16_e32 v23, 0x3b9c, v117
	v_fmamk_f16 v96, v27, 0xbb9c, v84
	v_fmac_f16_e32 v84, 0x3b9c, v27
	v_fmac_f16_e32 v99, 0x38b4, v93
	;; [unrolled: 1-line block ×7, first 2 shown]
	v_add_f16_e32 v21, v21, v77
	v_fmac_f16_e32 v79, 0x38b4, v117
	v_fmac_f16_e32 v80, 0xb8b4, v117
	v_add_f16_e32 v75, v75, v103
	v_fmac_f16_e32 v97, 0xb8b4, v27
	v_fmac_f16_e32 v30, 0x38b4, v27
	v_add_f16_e32 v24, v24, v78
	v_add_f16_e32 v27, v76, v105
	v_fmac_f16_e32 v98, 0x34f2, v87
	v_fmac_f16_e32 v100, 0x34f2, v92
	;; [unrolled: 1-line block ×14, first 2 shown]
	v_add_f16_e32 v28, v21, v24
	v_add_f16_e32 v76, v75, v27
	v_sub_f16_e32 v21, v21, v24
	v_sub_f16_e32 v24, v75, v27
	v_mul_f16_e32 v27, 0x38b4, v100
	v_mul_f16_e32 v81, 0xb8b4, v98
	v_fmac_f16_e32 v86, 0x34f2, v82
	v_fmac_f16_e32 v23, 0x34f2, v82
	;; [unrolled: 1-line block ×4, first 2 shown]
	v_mul_f16_e32 v75, 0x3b9c, v101
	v_mul_f16_e32 v77, 0x34f2, v8
	;; [unrolled: 1-line block ×4, first 2 shown]
	v_fmac_f16_e32 v97, 0x34f2, v85
	v_fmac_f16_e32 v30, 0x34f2, v85
	v_mul_f16_e32 v78, 0x3a79, v88
	v_mul_f16_e32 v85, 0x3a79, v94
	v_fmac_f16_e32 v27, 0x3a79, v98
	v_fmac_f16_e32 v81, 0x3a79, v100
	v_pack_b32_f16 v24, v21, v24
	v_fmac_f16_e32 v75, 0x34f2, v99
	v_fma_f16 v21, v89, 0x3b9c, -v77
	v_fmac_f16_e32 v82, 0x34f2, v101
	v_fma_f16 v77, v8, 0xbb9c, -v83
	v_pack_b32_f16 v28, v28, v76
	v_fma_f16 v76, v94, 0x38b4, -v78
	v_fma_f16 v78, v88, 0xb8b4, -v85
	v_add_f16_e32 v83, v79, v27
	v_add_f16_e32 v89, v96, v81
	;; [unrolled: 1-line block ×8, first 2 shown]
	v_sub_f16_e32 v27, v79, v27
	v_sub_f16_e32 v79, v86, v75
	;; [unrolled: 1-line block ×8, first 2 shown]
	v_pack_b32_f16 v30, v83, v89
	v_pack_b32_f16 v77, v85, v90
	v_pack_b32_f16 v78, v87, v91
	v_pack_b32_f16 v81, v88, v92
	v_pack_b32_f16 v23, v27, v23
	v_pack_b32_f16 v27, v79, v80
	v_pack_b32_f16 v79, v8, v75
	v_pack_b32_f16 v80, v21, v76
	ds_store_2addr_b32 v31, v28, v30 offset1:40
	ds_store_2addr_b32 v31, v77, v78 offset0:80 offset1:120
	ds_store_2addr_b32 v31, v81, v24 offset0:160 offset1:200
	;; [unrolled: 1-line block ×4, first 2 shown]
	global_wb scope:SCOPE_SE
	s_wait_dscnt 0x0
	s_barrier_signal -1
	s_barrier_wait -1
	global_inv scope:SCOPE_SE
	s_clause 0x7
	global_load_b32 v28, v[18:19], off offset:1600
	global_load_b32 v30, v25, s[0:1] offset:400
	global_load_b32 v81, v25, s[0:1] offset:1360
	global_load_b32 v82, v25, s[0:1] offset:1200
	global_load_b32 v83, v25, s[0:1] offset:960
	global_load_b32 v84, v25, s[0:1] offset:800
	global_load_b32 v85, v25, s[0:1] offset:560
	global_load_b32 v86, v25, s[0:1] offset:160
	ds_load_2addr_b32 v[23:24], v31 offset1:40
	ds_load_2addr_b32 v[26:27], v31 offset0:100 offset1:140
	ds_load_2addr_b32 v[77:78], v31 offset0:200 offset1:240
	;; [unrolled: 1-line block ×3, first 2 shown]
	s_wait_dscnt 0x3
	v_lshrrev_b32_e32 v87, 16, v23
	v_lshrrev_b32_e32 v91, 16, v24
	s_wait_dscnt 0x2
	v_lshrrev_b32_e32 v88, 16, v26
	v_lshrrev_b32_e32 v92, 16, v27
	;; [unrolled: 3-line block ×4, first 2 shown]
	s_wait_loadcnt 0x7
	v_lshrrev_b32_e32 v95, 16, v28
	s_wait_loadcnt 0x6
	v_lshrrev_b32_e32 v96, 16, v30
	;; [unrolled: 2-line block ×8, first 2 shown]
	v_mul_f16_e32 v103, v23, v95
	v_mul_f16_e32 v95, v87, v95
	;; [unrolled: 1-line block ×16, first 2 shown]
	v_fmac_f16_e32 v103, v87, v28
	v_fma_f16 v23, v23, v28, -v95
	v_fma_f16 v24, v24, v86, -v107
	v_fmac_f16_e32 v99, v91, v86
	v_fmac_f16_e32 v104, v88, v30
	v_fma_f16 v26, v26, v30, -v96
	v_fma_f16 v27, v27, v85, -v108
	v_fmac_f16_e32 v100, v92, v85
	;; [unrolled: 4-line block ×4, first 2 shown]
	v_pack_b32_f16 v23, v23, v103
	v_pack_b32_f16 v24, v24, v99
	;; [unrolled: 1-line block ×8, first 2 shown]
	ds_store_2addr_b32 v31, v23, v24 offset1:40
	ds_store_2addr_b32 v31, v26, v27 offset0:100 offset1:140
	ds_store_2addr_b32 v31, v28, v77 offset0:200 offset1:240
	;; [unrolled: 1-line block ×3, first 2 shown]
	s_and_saveexec_b32 s2, vcc_lo
	s_cbranch_execz .LBB0_9
; %bb.8:
	s_wait_alu 0xfffe
	v_add_co_u32 v23, s0, s0, v25
	s_wait_alu 0xf1ff
	v_add_co_ci_u32_e64 v24, null, s1, 0, s0
	s_clause 0x3
	global_load_b32 v27, v[23:24], off offset:320
	global_load_b32 v28, v[23:24], off offset:720
	global_load_b32 v30, v[23:24], off offset:1120
	global_load_b32 v77, v[23:24], off offset:1520
	ds_load_2addr_b32 v[23:24], v31 offset0:80 offset1:180
	ds_load_2addr_b32 v[25:26], v29 offset0:24 offset1:124
	s_wait_dscnt 0x1
	v_lshrrev_b32_e32 v78, 16, v23
	v_lshrrev_b32_e32 v79, 16, v24
	s_wait_dscnt 0x0
	v_lshrrev_b32_e32 v80, 16, v25
	v_lshrrev_b32_e32 v82, 16, v26
	s_wait_loadcnt 0x3
	v_lshrrev_b32_e32 v81, 16, v27
	s_wait_loadcnt 0x2
	;; [unrolled: 2-line block ×4, first 2 shown]
	v_lshrrev_b32_e32 v85, 16, v77
	v_mul_f16_e32 v86, v78, v81
	v_mul_f16_e32 v81, v23, v81
	;; [unrolled: 1-line block ×8, first 2 shown]
	v_fma_f16 v23, v23, v27, -v86
	v_fmac_f16_e32 v81, v78, v27
	v_fma_f16 v24, v24, v28, -v87
	v_fmac_f16_e32 v83, v79, v28
	;; [unrolled: 2-line block ×4, first 2 shown]
	v_pack_b32_f16 v23, v23, v81
	v_pack_b32_f16 v24, v24, v83
	;; [unrolled: 1-line block ×3, first 2 shown]
	s_delay_alu instid0(VALU_DEP_4)
	v_pack_b32_f16 v26, v26, v85
	ds_store_2addr_b32 v31, v23, v24 offset0:80 offset1:180
	ds_store_2addr_b32 v29, v25, v26 offset0:24 offset1:124
.LBB0_9:
	s_wait_alu 0xfffe
	s_or_b32 exec_lo, exec_lo, s2
	global_wb scope:SCOPE_SE
	s_wait_dscnt 0x0
	s_barrier_signal -1
	s_barrier_wait -1
	global_inv scope:SCOPE_SE
	ds_load_2addr_b32 v[25:26], v31 offset1:40
	ds_load_2addr_b32 v[23:24], v31 offset0:100 offset1:140
	ds_load_2addr_b32 v[27:28], v31 offset0:200 offset1:240
	;; [unrolled: 1-line block ×3, first 2 shown]
	v_add_nc_u32_e32 v56, 0x280, v56
	v_lshrrev_b32_e32 v55, 16, v55
	s_and_saveexec_b32 s0, vcc_lo
	s_cbranch_execz .LBB0_11
; %bb.10:
	v_lshl_add_u32 v8, v40, 2, v49
	v_add_nc_u32_e32 v9, 0x100, v31
	s_delay_alu instid0(VALU_DEP_2)
	v_add_nc_u32_e32 v21, 0x200, v8
	ds_load_2addr_b32 v[8:9], v9 offset0:16 offset1:216
	ds_load_2addr_b32 v[21:22], v21 offset0:52 offset1:252
	s_wait_dscnt 0x1
	v_lshrrev_b32_e32 v75, 16, v8
	s_wait_dscnt 0x0
	v_lshrrev_b32_e32 v76, 16, v21
	v_lshrrev_b32_e32 v55, 16, v22
.LBB0_11:
	s_wait_alu 0xfffe
	s_or_b32 exec_lo, exec_lo, s0
	s_wait_dscnt 0x0
	v_pk_add_f16 v29, v23, v29 neg_lo:[0,1] neg_hi:[0,1]
	v_pk_add_f16 v27, v25, v27 neg_lo:[0,1] neg_hi:[0,1]
	;; [unrolled: 1-line block ×4, first 2 shown]
	global_wb scope:SCOPE_SE
	v_lshrrev_b32_e32 v49, 16, v29
	v_lshrrev_b32_e32 v77, 16, v27
	;; [unrolled: 1-line block ×4, first 2 shown]
	v_pk_fma_f16 v80, v25, 2.0, v27 op_sel_hi:[1,0,1] neg_lo:[0,0,1] neg_hi:[0,0,1]
	v_pk_fma_f16 v23, v23, 2.0, v29 op_sel_hi:[1,0,1] neg_lo:[0,0,1] neg_hi:[0,0,1]
	v_add_f16_e32 v49, v27, v49
	v_pk_fma_f16 v81, v26, 2.0, v28 op_sel_hi:[1,0,1] neg_lo:[0,0,1] neg_hi:[0,0,1]
	v_sub_f16_e32 v26, v77, v29
	v_add_f16_e32 v78, v28, v78
	v_sub_f16_e32 v82, v79, v30
	v_pk_fma_f16 v24, v24, 2.0, v30 op_sel_hi:[1,0,1] neg_lo:[0,0,1] neg_hi:[0,0,1]
	v_fma_f16 v27, v27, 2.0, -v49
	v_fma_f16 v30, v77, 2.0, -v26
	v_pk_add_f16 v25, v80, v23 neg_lo:[0,1] neg_hi:[0,1]
	v_fma_f16 v28, v28, 2.0, -v78
	v_fma_f16 v77, v79, 2.0, -v82
	v_pk_add_f16 v29, v81, v24 neg_lo:[0,1] neg_hi:[0,1]
	v_pack_b32_f16 v26, v49, v26
	v_pk_fma_f16 v23, v80, 2.0, v25 op_sel_hi:[1,0,1] neg_lo:[0,0,1] neg_hi:[0,0,1]
	v_pack_b32_f16 v24, v27, v30
	v_pack_b32_f16 v30, v78, v82
	v_pk_fma_f16 v27, v81, 2.0, v29 op_sel_hi:[1,0,1] neg_lo:[0,0,1] neg_hi:[0,0,1]
	v_pack_b32_f16 v28, v28, v77
	s_barrier_signal -1
	s_barrier_wait -1
	global_inv scope:SCOPE_SE
	ds_store_b128 v53, v[23:26]
	ds_store_b128 v56, v[27:30]
	s_and_saveexec_b32 s0, vcc_lo
	s_cbranch_execz .LBB0_13
; %bb.12:
	v_lshrrev_b32_e32 v23, 16, v9
	v_sub_f16_e32 v9, v8, v9
	v_sub_f16_e32 v22, v21, v22
	;; [unrolled: 1-line block ×3, first 2 shown]
	s_delay_alu instid0(VALU_DEP_4) | instskip(NEXT) | instid1(VALU_DEP_4)
	v_sub_f16_e32 v23, v75, v23
	v_fma_f16 v8, v8, 2.0, -v9
	s_delay_alu instid0(VALU_DEP_4) | instskip(NEXT) | instid1(VALU_DEP_4)
	v_fma_f16 v21, v21, 2.0, -v22
	v_fma_f16 v26, v76, 2.0, -v24
	v_add_f16_e32 v24, v24, v9
	v_fma_f16 v25, v75, 2.0, -v23
	v_sub_f16_e32 v22, v23, v22
	v_sub_f16_e32 v21, v8, v21
	s_delay_alu instid0(VALU_DEP_4) | instskip(NEXT) | instid1(VALU_DEP_4)
	v_fma_f16 v9, v9, 2.0, -v24
	v_sub_f16_e32 v26, v25, v26
	s_delay_alu instid0(VALU_DEP_4) | instskip(NEXT) | instid1(VALU_DEP_4)
	v_fma_f16 v27, v23, 2.0, -v22
	v_fma_f16 v8, v8, 2.0, -v21
	v_pack_b32_f16 v24, v24, v22
	s_delay_alu instid0(VALU_DEP_4) | instskip(SKIP_2) | instid1(VALU_DEP_3)
	v_fma_f16 v25, v25, 2.0, -v26
	v_pack_b32_f16 v23, v21, v26
	v_pack_b32_f16 v22, v9, v27
	;; [unrolled: 1-line block ×3, first 2 shown]
	ds_store_b128 v52, v[21:24]
.LBB0_13:
	s_wait_alu 0xfffe
	s_or_b32 exec_lo, exec_lo, s0
	global_wb scope:SCOPE_SE
	s_wait_dscnt 0x0
	s_barrier_signal -1
	s_barrier_wait -1
	global_inv scope:SCOPE_SE
	ds_load_2addr_b32 v[21:22], v31 offset1:40
	ds_load_2addr_b32 v[23:24], v31 offset0:80 offset1:120
	ds_load_2addr_b32 v[25:26], v31 offset0:160 offset1:200
	v_add_nc_u32_e32 v9, 0x200, v31
	v_add_nc_u32_e32 v8, 0x400, v31
	ds_load_2addr_b32 v[27:28], v9 offset0:112 offset1:152
	ds_load_2addr_b32 v[29:30], v8 offset0:64 offset1:104
	global_wb scope:SCOPE_SE
	s_wait_dscnt 0x0
	s_barrier_signal -1
	s_barrier_wait -1
	global_inv scope:SCOPE_SE
	s_mov_b32 s10, 0x47ae147b
	s_mov_b32 s11, 0x3f647ae1
	v_lshrrev_b32_e32 v52, 16, v22
	v_lshrrev_b32_e32 v53, 16, v23
	v_lshrrev_b32_e32 v56, 16, v25
	v_mul_f16_e32 v76, v64, v22
	v_mul_f16_e32 v77, v65, v23
	;; [unrolled: 1-line block ×4, first 2 shown]
	v_lshrrev_b32_e32 v55, 16, v24
	v_lshrrev_b32_e32 v75, 16, v26
	;; [unrolled: 1-line block ×3, first 2 shown]
	v_fma_f16 v52, v4, v52, -v76
	v_fma_f16 v53, v5, v53, -v77
	v_fmac_f16_e32 v64, v4, v22
	v_fmac_f16_e32 v65, v5, v23
	v_mul_f16_e32 v4, v62, v56
	v_mul_f16_e32 v5, v62, v25
	;; [unrolled: 1-line block ×3, first 2 shown]
	v_lshrrev_b32_e32 v81, 16, v29
	v_mul_f16_e32 v63, v63, v55
	v_mul_f16_e32 v22, v61, v75
	v_fmac_f16_e32 v4, v7, v25
	v_fma_f16 v5, v7, v56, -v5
	v_mul_f16_e32 v7, v61, v26
	v_mul_f16_e32 v23, v60, v79
	v_lshrrev_b32_e32 v80, 16, v28
	v_fmac_f16_e32 v63, v6, v24
	v_fmac_f16_e32 v22, v0, v26
	v_mul_f16_e32 v24, v60, v27
	v_fma_f16 v0, v0, v75, -v7
	v_fmac_f16_e32 v23, v1, v27
	v_mul_f16_e32 v7, v58, v29
	v_mul_f16_e32 v27, v58, v81
	v_lshrrev_b32_e32 v82, 16, v30
	v_mul_f16_e32 v25, v59, v80
	v_add_f16_e32 v26, v4, v23
	v_fma_f16 v7, v3, v81, -v7
	v_fmac_f16_e32 v27, v3, v29
	v_lshrrev_b32_e32 v49, 16, v21
	v_fma_f16 v6, v6, v55, -v78
	v_fma_f16 v1, v1, v79, -v24
	v_fmac_f16_e32 v25, v2, v28
	v_mul_f16_e32 v24, v59, v28
	v_mul_f16_e32 v28, v57, v82
	v_add_f16_e32 v55, v21, v65
	v_fma_f16 v26, -0.5, v26, v21
	v_sub_f16_e32 v56, v53, v7
	v_add_f16_e32 v59, v65, v27
	v_fma_f16 v2, v2, v80, -v24
	v_fmac_f16_e32 v28, v51, v30
	v_add_f16_e32 v3, v55, v4
	v_fmamk_f16 v24, v56, 0xbb9c, v26
	v_sub_f16_e32 v29, v5, v1
	v_sub_f16_e32 v55, v65, v4
	;; [unrolled: 1-line block ×3, first 2 shown]
	v_mul_f16_e32 v30, v57, v30
	v_fmac_f16_e32 v21, -0.5, v59
	v_fmac_f16_e32 v26, 0x3b9c, v56
	v_add_f16_e32 v59, v49, v53
	v_add_f16_e32 v3, v3, v23
	v_fmac_f16_e32 v24, 0xb8b4, v29
	v_add_f16_e32 v55, v55, v58
	v_fma_f16 v30, v51, v82, -v30
	v_fmamk_f16 v51, v29, 0x3b9c, v21
	v_sub_f16_e32 v57, v4, v65
	v_sub_f16_e32 v58, v23, v27
	v_fmac_f16_e32 v26, 0x38b4, v29
	v_add_f16_e32 v60, v5, v1
	v_fmac_f16_e32 v21, 0xbb9c, v29
	v_add_f16_e32 v29, v59, v5
	v_add_f16_e32 v3, v3, v27
	v_fmac_f16_e32 v51, 0xb8b4, v56
	v_add_f16_e32 v57, v57, v58
	v_fma_f16 v58, -0.5, v60, v49
	v_sub_f16_e32 v27, v65, v27
	v_fmac_f16_e32 v21, 0x38b4, v56
	v_add_f16_e32 v29, v29, v1
	v_add_f16_e32 v56, v53, v7
	v_fmac_f16_e32 v24, 0x34f2, v55
	v_fmac_f16_e32 v26, 0x34f2, v55
	v_fmamk_f16 v55, v27, 0x3b9c, v58
	v_sub_f16_e32 v4, v4, v23
	v_sub_f16_e32 v59, v7, v1
	v_fmac_f16_e32 v49, -0.5, v56
	v_add_f16_e32 v29, v29, v7
	v_fmac_f16_e32 v58, 0xbb9c, v27
	v_sub_f16_e32 v1, v1, v7
	v_add_f16_e32 v7, v64, v63
	v_sub_f16_e32 v23, v53, v5
	v_sub_f16_e32 v5, v5, v53
	v_fmac_f16_e32 v55, 0x38b4, v4
	v_fmamk_f16 v56, v4, 0xbb9c, v49
	v_fmac_f16_e32 v58, 0xb8b4, v4
	v_fmac_f16_e32 v49, 0x3b9c, v4
	v_add_f16_e32 v4, v7, v22
	v_add_f16_e32 v23, v23, v59
	;; [unrolled: 1-line block ×4, first 2 shown]
	v_fmac_f16_e32 v56, 0x38b4, v27
	v_fmac_f16_e32 v49, 0xb8b4, v27
	v_add_f16_e32 v4, v4, v25
	v_add_f16_e32 v7, v63, v28
	v_fmac_f16_e32 v55, 0x34f2, v23
	v_fmac_f16_e32 v58, 0x34f2, v23
	v_fma_f16 v5, -0.5, v5, v64
	v_sub_f16_e32 v23, v6, v30
	v_fmac_f16_e32 v56, 0x34f2, v1
	v_fmac_f16_e32 v49, 0x34f2, v1
	v_add_f16_e32 v1, v4, v28
	v_sub_f16_e32 v4, v0, v2
	v_fmac_f16_e32 v64, -0.5, v7
	v_fmamk_f16 v7, v23, 0xbb9c, v5
	v_sub_f16_e32 v27, v63, v22
	v_sub_f16_e32 v53, v28, v25
	v_fmac_f16_e32 v5, 0x3b9c, v23
	v_fmac_f16_e32 v51, 0x34f2, v57
	;; [unrolled: 1-line block ×3, first 2 shown]
	v_fmamk_f16 v57, v4, 0x3b9c, v64
	v_fmac_f16_e32 v64, 0xbb9c, v4
	v_sub_f16_e32 v59, v22, v63
	v_sub_f16_e32 v60, v25, v28
	v_fmac_f16_e32 v7, 0xb8b4, v4
	v_add_f16_e32 v27, v27, v53
	v_fmac_f16_e32 v5, 0x38b4, v4
	v_add_f16_e32 v4, v0, v2
	v_fmac_f16_e32 v57, 0xb8b4, v23
	v_fmac_f16_e32 v64, 0x38b4, v23
	v_add_f16_e32 v23, v6, v30
	v_add_f16_e32 v53, v59, v60
	v_fmac_f16_e32 v7, 0x34f2, v27
	v_fmac_f16_e32 v5, 0x34f2, v27
	v_fma_f16 v4, -0.5, v4, v52
	v_sub_f16_e32 v27, v63, v28
	v_add_f16_e32 v28, v52, v6
	v_sub_f16_e32 v22, v22, v25
	v_fmac_f16_e32 v52, -0.5, v23
	v_fmac_f16_e32 v57, 0x34f2, v53
	v_fmac_f16_e32 v64, 0x34f2, v53
	v_fmamk_f16 v23, v27, 0x3b9c, v4
	v_sub_f16_e32 v25, v6, v0
	v_sub_f16_e32 v53, v30, v2
	v_fmamk_f16 v59, v22, 0xbb9c, v52
	v_sub_f16_e32 v6, v0, v6
	v_sub_f16_e32 v60, v2, v30
	v_fmac_f16_e32 v52, 0x3b9c, v22
	v_fmac_f16_e32 v4, 0xbb9c, v27
	;; [unrolled: 1-line block ×3, first 2 shown]
	v_add_f16_e32 v25, v25, v53
	v_fmac_f16_e32 v59, 0x38b4, v27
	v_add_f16_e32 v6, v6, v60
	v_fmac_f16_e32 v52, 0xb8b4, v27
	v_fmac_f16_e32 v4, 0xb8b4, v22
	v_add_f16_e32 v0, v28, v0
	v_fmac_f16_e32 v23, 0x34f2, v25
	v_fmac_f16_e32 v59, 0x34f2, v6
	;; [unrolled: 1-line block ×4, first 2 shown]
	v_add_f16_e32 v0, v0, v2
	v_mul_f16_e32 v2, 0xb8b4, v23
	v_mul_f16_e32 v23, 0x3a79, v23
	;; [unrolled: 1-line block ×8, first 2 shown]
	v_add_f16_e32 v0, v0, v30
	v_fmac_f16_e32 v2, 0x3a79, v7
	v_fmac_f16_e32 v23, 0x38b4, v7
	;; [unrolled: 1-line block ×8, first 2 shown]
	v_add_f16_e32 v27, v3, v1
	v_add_f16_e32 v28, v24, v2
	;; [unrolled: 1-line block ×10, first 2 shown]
	v_sub_f16_e32 v1, v3, v1
	v_sub_f16_e32 v0, v29, v0
	;; [unrolled: 1-line block ×10, first 2 shown]
	v_pack_b32_f16 v5, v27, v5
	v_pack_b32_f16 v7, v28, v7
	;; [unrolled: 1-line block ×10, first 2 shown]
	ds_store_2addr_b32 v50, v5, v7 offset1:4
	ds_store_2addr_b32 v50, v25, v26 offset0:8 offset1:12
	ds_store_2addr_b32 v50, v27, v0 offset0:16 offset1:20
	;; [unrolled: 1-line block ×4, first 2 shown]
	global_wb scope:SCOPE_SE
	s_wait_dscnt 0x0
	s_barrier_signal -1
	s_barrier_wait -1
	global_inv scope:SCOPE_SE
	ds_load_2addr_b32 v[0:1], v31 offset1:40
	ds_load_2addr_b32 v[2:3], v31 offset0:80 offset1:120
	ds_load_2addr_b32 v[4:5], v31 offset0:160 offset1:200
	;; [unrolled: 1-line block ×4, first 2 shown]
	s_wait_dscnt 0x4
	v_lshrrev_b32_e32 v24, 16, v1
	s_wait_dscnt 0x3
	v_lshrrev_b32_e32 v25, 16, v2
	v_lshrrev_b32_e32 v26, 16, v3
	s_wait_dscnt 0x2
	v_lshrrev_b32_e32 v27, 16, v4
	v_mul_f16_e32 v51, v74, v1
	v_mul_f16_e32 v49, v74, v24
	;; [unrolled: 1-line block ×3, first 2 shown]
	v_lshrrev_b32_e32 v28, 16, v5
	s_wait_dscnt 0x1
	v_lshrrev_b32_e32 v29, 16, v6
	v_lshrrev_b32_e32 v30, 16, v7
	v_fmac_f16_e32 v49, v14, v1
	v_mul_f16_e32 v1, v73, v2
	v_fma_f16 v14, v14, v24, -v51
	v_fmac_f16_e32 v52, v15, v2
	v_mul_f16_e32 v2, v72, v26
	v_mul_f16_e32 v24, v72, v3
	v_fma_f16 v1, v15, v25, -v1
	v_mul_f16_e32 v15, v71, v27
	v_mul_f16_e32 v25, v71, v4
	s_wait_dscnt 0x0
	v_lshrrev_b32_e32 v50, 16, v21
	v_fmac_f16_e32 v2, v16, v3
	v_fma_f16 v3, v16, v26, -v24
	v_mul_f16_e32 v16, v70, v28
	v_fmac_f16_e32 v15, v17, v4
	v_fma_f16 v4, v17, v27, -v25
	v_mul_f16_e32 v17, v70, v5
	v_mul_f16_e32 v24, v69, v29
	v_fmac_f16_e32 v16, v10, v5
	v_mul_f16_e32 v25, v68, v30
	v_mul_f16_e32 v5, v69, v6
	v_fma_f16 v10, v10, v28, -v17
	v_mul_f16_e32 v17, v67, v50
	v_fmac_f16_e32 v24, v11, v6
	v_mul_f16_e32 v6, v67, v21
	v_fmac_f16_e32 v25, v12, v7
	;; [unrolled: 2-line block ×3, first 2 shown]
	v_lshrrev_b32_e32 v53, 16, v22
	v_fma_f16 v5, v11, v29, -v5
	v_add_f16_e32 v11, v15, v24
	v_fma_f16 v6, v13, v50, -v6
	v_add_f16_e32 v27, v0, v52
	;; [unrolled: 2-line block ×3, first 2 shown]
	v_lshrrev_b32_e32 v23, 16, v0
	v_mul_f16_e32 v26, v66, v53
	v_fma_f16 v11, -0.5, v11, v0
	v_sub_f16_e32 v28, v1, v6
	v_add_f16_e32 v12, v27, v15
	v_sub_f16_e32 v21, v4, v5
	v_sub_f16_e32 v27, v52, v15
	;; [unrolled: 1-line block ×3, first 2 shown]
	v_fmac_f16_e32 v0, -0.5, v30
	v_fmac_f16_e32 v26, v54, v22
	v_fmamk_f16 v13, v28, 0xbb9c, v11
	v_mul_f16_e32 v22, v66, v22
	v_add_f16_e32 v27, v27, v29
	v_fmac_f16_e32 v11, 0x3b9c, v28
	v_fmamk_f16 v29, v21, 0x3b9c, v0
	v_add_f16_e32 v51, v23, v1
	v_fmac_f16_e32 v0, 0xbb9c, v21
	v_fmac_f16_e32 v13, 0xb8b4, v21
	v_fma_f16 v22, v54, v53, -v22
	v_sub_f16_e32 v30, v15, v52
	v_sub_f16_e32 v50, v24, v17
	v_fmac_f16_e32 v11, 0x38b4, v21
	v_add_f16_e32 v53, v4, v5
	v_fmac_f16_e32 v29, 0xb8b4, v28
	v_add_f16_e32 v21, v51, v4
	;; [unrolled: 2-line block ×3, first 2 shown]
	v_add_f16_e32 v12, v12, v24
	v_add_f16_e32 v30, v30, v50
	v_fma_f16 v50, -0.5, v53, v23
	v_add_f16_e32 v21, v21, v5
	v_sub_f16_e32 v15, v15, v24
	v_sub_f16_e32 v24, v1, v4
	;; [unrolled: 1-line block ×3, first 2 shown]
	v_fmac_f16_e32 v23, -0.5, v28
	v_sub_f16_e32 v1, v4, v1
	v_sub_f16_e32 v4, v5, v6
	v_add_f16_e32 v5, v49, v2
	v_add_f16_e32 v12, v12, v17
	v_sub_f16_e32 v17, v52, v17
	v_fmamk_f16 v28, v15, 0xbb9c, v23
	v_add_f16_e32 v1, v1, v4
	v_fmac_f16_e32 v23, 0x3b9c, v15
	v_add_f16_e32 v4, v5, v16
	v_fmac_f16_e32 v13, 0x34f2, v27
	v_fmac_f16_e32 v11, 0x34f2, v27
	v_fmamk_f16 v27, v17, 0x3b9c, v50
	v_fmac_f16_e32 v50, 0xbb9c, v17
	v_add_f16_e32 v5, v16, v25
	v_add_f16_e32 v21, v21, v6
	v_fmac_f16_e32 v28, 0x38b4, v17
	v_fmac_f16_e32 v23, 0xb8b4, v17
	v_add_f16_e32 v4, v4, v25
	v_add_f16_e32 v6, v2, v26
	v_fmac_f16_e32 v27, 0x38b4, v15
	v_fmac_f16_e32 v50, 0xb8b4, v15
	v_fma_f16 v5, -0.5, v5, v49
	v_sub_f16_e32 v15, v3, v22
	v_add_f16_e32 v24, v24, v51
	v_fmac_f16_e32 v28, 0x34f2, v1
	v_fmac_f16_e32 v23, 0x34f2, v1
	v_add_f16_e32 v1, v4, v26
	v_sub_f16_e32 v4, v10, v7
	v_fmac_f16_e32 v49, -0.5, v6
	v_fmamk_f16 v6, v15, 0xbb9c, v5
	v_fmac_f16_e32 v5, 0x3b9c, v15
	v_fmac_f16_e32 v29, 0x34f2, v30
	;; [unrolled: 1-line block ×5, first 2 shown]
	v_sub_f16_e32 v17, v2, v16
	v_sub_f16_e32 v24, v26, v25
	v_fmamk_f16 v30, v4, 0x3b9c, v49
	v_fmac_f16_e32 v49, 0xbb9c, v4
	v_sub_f16_e32 v51, v16, v2
	v_sub_f16_e32 v52, v25, v26
	v_fmac_f16_e32 v6, 0xb8b4, v4
	v_fmac_f16_e32 v5, 0x38b4, v4
	v_add_f16_e32 v4, v10, v7
	v_add_f16_e32 v17, v17, v24
	v_fmac_f16_e32 v30, 0xb8b4, v15
	v_fmac_f16_e32 v49, 0x38b4, v15
	v_add_f16_e32 v15, v3, v22
	v_add_f16_e32 v24, v51, v52
	v_fma_f16 v4, -0.5, v4, v14
	v_sub_f16_e32 v2, v2, v26
	v_fmac_f16_e32 v6, 0x34f2, v17
	v_fmac_f16_e32 v5, 0x34f2, v17
	v_add_f16_e32 v17, v14, v3
	v_sub_f16_e32 v16, v16, v25
	v_fmac_f16_e32 v14, -0.5, v15
	v_fmac_f16_e32 v30, 0x34f2, v24
	v_fmac_f16_e32 v49, 0x34f2, v24
	v_fmamk_f16 v15, v2, 0x3b9c, v4
	v_sub_f16_e32 v24, v3, v10
	v_sub_f16_e32 v25, v22, v7
	v_fmamk_f16 v26, v16, 0xbb9c, v14
	v_sub_f16_e32 v3, v10, v3
	v_sub_f16_e32 v51, v7, v22
	v_fmac_f16_e32 v14, 0x3b9c, v16
	v_fmac_f16_e32 v4, 0xbb9c, v2
	;; [unrolled: 1-line block ×3, first 2 shown]
	v_add_f16_e32 v24, v24, v25
	v_fmac_f16_e32 v26, 0x38b4, v2
	v_add_f16_e32 v3, v3, v51
	v_fmac_f16_e32 v14, 0xb8b4, v2
	v_fmac_f16_e32 v4, 0xb8b4, v16
	v_add_f16_e32 v2, v17, v10
	v_fmac_f16_e32 v15, 0x34f2, v24
	v_fmac_f16_e32 v26, 0x34f2, v3
	;; [unrolled: 1-line block ×4, first 2 shown]
	v_add_f16_e32 v2, v2, v7
	v_mul_f16_e32 v3, 0xb8b4, v15
	v_mul_f16_e32 v15, 0x3a79, v15
	;; [unrolled: 1-line block ×8, first 2 shown]
	v_add_f16_e32 v2, v2, v22
	v_fmac_f16_e32 v3, 0x3a79, v6
	v_fmac_f16_e32 v15, 0x38b4, v6
	v_fmac_f16_e32 v7, 0x34f2, v30
	v_fmac_f16_e32 v10, 0xb4f2, v49
	v_fmac_f16_e32 v26, 0x3b9c, v30
	v_fmac_f16_e32 v14, 0x3b9c, v49
	v_fmac_f16_e32 v16, 0xba79, v5
	v_fmac_f16_e32 v4, 0x38b4, v5
	v_add_f16_e32 v17, v12, v1
	v_add_f16_e32 v22, v13, v3
	;; [unrolled: 1-line block ×10, first 2 shown]
	v_sub_f16_e32 v1, v12, v1
	v_sub_f16_e32 v2, v21, v2
	;; [unrolled: 1-line block ×10, first 2 shown]
	v_pack_b32_f16 v5, v17, v5
	v_pack_b32_f16 v6, v22, v6
	;; [unrolled: 1-line block ×10, first 2 shown]
	ds_store_2addr_b32 v31, v5, v6 offset1:40
	ds_store_2addr_b32 v31, v14, v15 offset0:80 offset1:120
	ds_store_2addr_b32 v31, v16, v1 offset0:160 offset1:200
	;; [unrolled: 1-line block ×4, first 2 shown]
	global_wb scope:SCOPE_SE
	s_wait_dscnt 0x0
	s_barrier_signal -1
	s_barrier_wait -1
	global_inv scope:SCOPE_SE
	ds_load_2addr_b32 v[4:5], v31 offset1:40
	s_wait_dscnt 0x0
	v_lshrrev_b32_e32 v0, 16, v4
	s_delay_alu instid0(VALU_DEP_1) | instskip(NEXT) | instid1(VALU_DEP_1)
	v_mul_f16_e32 v1, v48, v0
	v_fmac_f16_e32 v1, v46, v4
	s_delay_alu instid0(VALU_DEP_1) | instskip(NEXT) | instid1(VALU_DEP_1)
	v_cvt_f32_f16_e32 v1, v1
	v_cvt_f64_f32_e32 v[6:7], v1
	v_mul_f16_e32 v1, v48, v4
	s_delay_alu instid0(VALU_DEP_1) | instskip(SKIP_2) | instid1(VALU_DEP_1)
	v_fma_f16 v0, v46, v0, -v1
	ds_load_2addr_b32 v[1:2], v31 offset0:100 offset1:140
	v_cvt_f32_f16_e32 v0, v0
	v_cvt_f64_f32_e32 v[3:4], v0
	s_wait_dscnt 0x0
	v_lshrrev_b32_e32 v0, 16, v1
	s_delay_alu instid0(VALU_DEP_1) | instskip(NEXT) | instid1(VALU_DEP_1)
	v_mul_f16_e32 v9, v47, v0
	v_fmac_f16_e32 v9, v45, v1
	s_wait_alu 0xfffe
	v_mul_f64_e32 v[6:7], s[10:11], v[6:7]
	v_mul_f16_e32 v1, v47, v1
	s_delay_alu instid0(VALU_DEP_3) | instskip(NEXT) | instid1(VALU_DEP_2)
	v_cvt_f32_f16_e32 v9, v9
	v_fma_f16 v0, v45, v0, -v1
	s_delay_alu instid0(VALU_DEP_2)
	v_cvt_f64_f32_e32 v[9:10], v9
	v_mul_f64_e32 v[3:4], s[10:11], v[3:4]
	v_and_or_b32 v6, 0x1ff, v7, v6
	v_lshrrev_b32_e32 v11, 8, v7
	v_bfe_u32 v12, v7, 20, 11
	v_lshrrev_b32_e32 v27, 16, v7
	s_delay_alu instid0(VALU_DEP_4) | instskip(NEXT) | instid1(VALU_DEP_3)
	v_cmp_ne_u32_e64 s0, 0, v6
	v_add_nc_u32_e32 v22, 0xfffffc10, v12
	v_mul_f64_e32 v[9:10], s[10:11], v[9:10]
	s_wait_alu 0xf1ff
	s_delay_alu instid0(VALU_DEP_3) | instskip(NEXT) | instid1(VALU_DEP_1)
	v_cndmask_b32_e64 v6, 0, 1, s0
	v_and_or_b32 v6, 0xffe, v11, v6
	v_sub_nc_u32_e32 v11, 0x3f1, v12
	v_and_or_b32 v3, 0x1ff, v4, v3
	v_lshrrev_b32_e32 v15, 8, v4
	v_bfe_u32 v16, v4, 20, 11
	v_or_b32_e32 v13, 0x1000, v6
	v_med3_i32 v11, v11, 0, 13
	v_cmp_ne_u32_e64 s0, 0, v3
	v_lshl_or_b32 v24, v22, 12, v6
	s_delay_alu instid0(VALU_DEP_3) | instskip(SKIP_1) | instid1(VALU_DEP_3)
	v_lshrrev_b32_e32 v14, v11, v13
	s_wait_alu 0xf1ff
	v_cndmask_b32_e64 v3, 0, 1, s0
	s_delay_alu instid0(VALU_DEP_2) | instskip(NEXT) | instid1(VALU_DEP_2)
	v_lshlrev_b32_e32 v11, v11, v14
	v_and_or_b32 v21, 0xffe, v15, v3
	v_sub_nc_u32_e32 v3, 0x3f1, v16
	s_delay_alu instid0(VALU_DEP_3) | instskip(NEXT) | instid1(VALU_DEP_3)
	v_cmp_ne_u32_e64 s0, v11, v13
	v_or_b32_e32 v15, 0x1000, v21
	s_delay_alu instid0(VALU_DEP_3)
	v_med3_i32 v3, v3, 0, 13
	v_mad_co_u64_u32 v[11:12], null, s6, v20, 0
	s_wait_alu 0xf1ff
	v_cndmask_b32_e64 v13, 0, 1, s0
	v_cmp_gt_i32_e64 s0, 1, v22
	v_lshrrev_b32_e32 v23, v3, v15
	s_delay_alu instid0(VALU_DEP_3) | instskip(SKIP_1) | instid1(VALU_DEP_3)
	v_or_b32_e32 v17, v14, v13
	v_cvt_f32_f16_e32 v13, v0
	v_lshlrev_b32_e32 v25, v3, v23
	ds_load_2addr_b32 v[0:1], v31 offset0:200 offset1:240
	v_mov_b32_e32 v3, v12
	s_wait_alu 0xf1ff
	v_cndmask_b32_e64 v17, v24, v17, s0
	v_cvt_f64_f32_e32 v[13:14], v13
	v_cmp_ne_u32_e64 s0, v25, v15
	v_add_nc_u32_e32 v24, 0xfffffc10, v16
	v_mad_co_u64_u32 v[15:16], null, s7, v20, v[3:4]
	v_and_b32_e32 v25, 7, v17
	s_wait_alu 0xf1ff
	v_cndmask_b32_e64 v12, 0, 1, s0
	v_lshrrev_b32_e32 v16, 2, v17
	v_cmp_gt_i32_e64 s2, 1, v24
	v_and_or_b32 v9, 0x1ff, v10, v9
	v_cmp_lt_i32_e64 s0, 5, v25
	v_cmp_eq_u32_e64 s1, 3, v25
	v_or_b32_e32 v3, v23, v12
	v_lshl_or_b32 v12, v24, 12, v21
	v_lshrrev_b32_e32 v23, 8, v10
	v_bfe_u32 v25, v10, 20, 11
	s_or_b32 s0, s1, s0
	s_wait_dscnt 0x0
	v_lshrrev_b32_e32 v20, 16, v0
	v_cndmask_b32_e64 v3, v12, v3, s2
	s_wait_alu 0xfffe
	v_add_co_ci_u32_e64 v12, s0, 0, v16, s0
	v_cmp_ne_u32_e64 s0, 0, v6
	v_mul_f16_e32 v16, v44, v20
	v_and_b32_e32 v17, 7, v3
	v_lshrrev_b32_e32 v3, 2, v3
	v_cmp_ne_u32_e64 s2, 0, v9
	s_wait_alu 0xf1ff
	v_cndmask_b32_e64 v6, 0, 1, s0
	v_cmp_gt_i32_e64 s0, 31, v22
	v_cmp_eq_u32_e64 s1, 3, v17
	v_fmac_f16_e32 v16, v43, v0
	v_cndmask_b32_e64 v9, 0, 1, s2
	v_lshl_or_b32 v6, v6, 9, 0x7c00
	s_wait_alu 0xf1ff
	v_cndmask_b32_e64 v12, 0x7c00, v12, s0
	v_cmp_lt_i32_e64 s0, 5, v17
	v_cvt_f32_f16_e32 v16, v16
	v_and_or_b32 v9, 0xffe, v23, v9
	v_sub_nc_u32_e32 v23, 0x3f1, v25
	v_lshrrev_b32_e32 v4, 16, v4
	s_or_b32 s0, s1, s0
	v_mul_f64_e32 v[13:14], s[10:11], v[13:14]
	s_wait_alu 0xfffe
	v_add_co_ci_u32_e64 v3, s0, 0, v3, s0
	v_cmp_ne_u32_e64 s0, 0, v21
	v_cvt_f64_f32_e32 v[16:17], v16
	v_or_b32_e32 v26, 0x1000, v9
	v_med3_i32 v23, v23, 0, 13
	s_mul_u64 s[2:3], s[4:5], 0x64
	s_wait_alu 0xf1ff
	v_cndmask_b32_e64 v21, 0, 1, s0
	v_cmp_gt_i32_e64 s0, 31, v24
	s_wait_alu 0xfffe
	s_lshl_b64 s[16:17], s[2:3], 2
	s_delay_alu instid0(VALU_DEP_2) | instskip(NEXT) | instid1(VALU_DEP_2)
	v_lshl_or_b32 v21, v21, 9, 0x7c00
	v_cndmask_b32_e64 v3, 0x7c00, v3, s0
	v_cmp_eq_u32_e64 s0, 0x40f, v22
	s_wait_alu 0xf1ff
	s_delay_alu instid0(VALU_DEP_1)
	v_cndmask_b32_e64 v22, v12, v6, s0
	v_cmp_eq_u32_e64 s0, 0x40f, v24
	v_mov_b32_e32 v12, v15
	v_mad_co_u64_u32 v[6:7], null, s4, v40, 0
	v_add_nc_u32_e32 v24, 0xfffffc10, v25
	s_wait_alu 0xf1ff
	v_cndmask_b32_e64 v3, v3, v21, s0
	v_lshrrev_b32_e32 v21, v23, v26
	v_and_or_b32 v22, 0x8000, v27, v22
	v_lshlrev_b64_e32 v[11:12], 2, v[11:12]
	s_delay_alu instid0(VALU_DEP_3) | instskip(SKIP_3) | instid1(VALU_DEP_4)
	v_lshlrev_b32_e32 v15, v23, v21
	v_and_or_b32 v23, 0x8000, v4, v3
	v_mul_f16_e32 v3, v44, v0
	v_mov_b32_e32 v0, v7
	v_cmp_ne_u32_e64 s0, v15, v26
	v_and_or_b32 v13, 0x1ff, v14, v13
	s_delay_alu instid0(VALU_DEP_4) | instskip(NEXT) | instid1(VALU_DEP_4)
	v_fma_f16 v15, v43, v20, -v3
	v_mad_co_u64_u32 v[3:4], null, s5, v40, v[0:1]
	s_wait_alu 0xf1ff
	v_cndmask_b32_e64 v7, 0, 1, s0
	v_cmp_gt_i32_e64 s0, 1, v24
	v_cvt_f32_f16_e32 v20, v15
	v_mul_f64_e32 v[15:16], s[10:11], v[16:17]
	v_and_b32_e32 v0, 0xffff, v22
	v_or_b32_e32 v4, v21, v7
	v_lshl_or_b32 v7, v24, 12, v9
	v_cvt_f64_f32_e32 v[20:21], v20
	v_bfe_u32 v22, v14, 20, 11
	v_lshl_or_b32 v0, v23, 16, v0
	s_wait_alu 0xf1ff
	v_cndmask_b32_e64 v17, v7, v4, s0
	v_cmp_ne_u32_e64 s0, 0, v13
	v_lshrrev_b32_e32 v13, 8, v14
	v_sub_nc_u32_e32 v23, 0x3f1, v22
	v_mov_b32_e32 v7, v3
	v_and_b32_e32 v25, 7, v17
	s_wait_alu 0xf1ff
	v_cndmask_b32_e64 v4, 0, 1, s0
	v_lshrrev_b32_e32 v17, 2, v17
	v_med3_i32 v23, v23, 0, 13
	v_add_nc_u32_e32 v22, 0xfffffc10, v22
	v_cmp_lt_i32_e64 s0, 5, v25
	v_and_or_b32 v13, 0xffe, v13, v4
	v_cmp_eq_u32_e64 s1, 3, v25
	ds_load_2addr_b32 v[3:4], v8 offset0:44 offset1:84
	v_lshlrev_b64_e32 v[6:7], 2, v[6:7]
	v_lshrrev_b32_e32 v14, 16, v14
	v_or_b32_e32 v25, 0x1000, v13
	s_or_b32 s0, s1, s0
	v_lshl_or_b32 v29, v22, 12, v13
	s_wait_alu 0xfffe
	v_add_co_ci_u32_e64 v17, s0, 0, v17, s0
	v_lshrrev_b32_e32 v26, v23, v25
	v_add_co_u32 v27, s0, s8, v11
	s_wait_alu 0xf1ff
	v_add_co_ci_u32_e64 v28, s0, s9, v12, s0
	s_delay_alu instid0(VALU_DEP_3) | instskip(SKIP_4) | instid1(VALU_DEP_3)
	v_lshlrev_b32_e32 v11, v23, v26
	v_cmp_gt_i32_e64 s0, 31, v24
	v_and_or_b32 v15, 0x1ff, v16, v15
	v_bfe_u32 v30, v16, 20, 11
	s_wait_alu 0xf1ff
	v_cndmask_b32_e64 v17, 0x7c00, v17, s0
	v_cmp_ne_u32_e64 s0, v11, v25
	s_wait_dscnt 0x0
	v_lshrrev_b32_e32 v23, 16, v3
	s_wait_alu 0xf1ff
	s_delay_alu instid0(VALU_DEP_2) | instskip(SKIP_1) | instid1(VALU_DEP_3)
	v_cndmask_b32_e64 v11, 0, 1, s0
	v_cmp_ne_u32_e64 s0, 0, v9
	v_mul_f16_e32 v25, v42, v23
	s_delay_alu instid0(VALU_DEP_3) | instskip(SKIP_1) | instid1(VALU_DEP_3)
	v_or_b32_e32 v26, v26, v11
	s_wait_alu 0xf1ff
	v_cndmask_b32_e64 v9, 0, 1, s0
	v_mul_f64_e32 v[11:12], s[10:11], v[20:21]
	v_cmp_ne_u32_e64 s0, 0, v15
	v_fmac_f16_e32 v25, v41, v3
	v_lshrrev_b32_e32 v20, 8, v16
	v_lshl_or_b32 v9, v9, 9, 0x7c00
	v_mul_f16_e32 v3, v42, v3
	s_wait_alu 0xf1ff
	v_cndmask_b32_e64 v15, 0, 1, s0
	v_cmp_gt_i32_e64 s0, 1, v22
	v_cvt_f32_f16_e32 v21, v25
	v_lshrrev_b32_e32 v16, 16, v16
	v_fma_f16 v3, v41, v23, -v3
	v_and_or_b32 v15, 0xffe, v20, v15
	s_wait_alu 0xf1ff
	v_cndmask_b32_e64 v25, v29, v26, s0
	v_add_co_u32 v6, s0, v27, v6
	v_sub_nc_u32_e32 v26, 0x3f1, v30
	s_wait_alu 0xf1ff
	v_add_co_ci_u32_e64 v7, s0, v28, v7, s0
	v_and_b32_e32 v29, 7, v25
	v_cmp_eq_u32_e64 s0, 0x40f, v24
	v_or_b32_e32 v40, 0x1000, v15
	v_med3_i32 v26, v26, 0, 13
	v_cvt_f64_f32_e32 v[20:21], v21
	v_cmp_eq_u32_e64 s1, 3, v29
	s_wait_alu 0xf1ff
	v_cndmask_b32_e64 v17, v17, v9, s0
	v_cmp_lt_i32_e64 s0, 5, v29
	v_lshrrev_b32_e32 v9, 2, v25
	v_lshrrev_b32_e32 v24, v26, v40
	;; [unrolled: 1-line block ×3, first 2 shown]
	v_cvt_f32_f16_e32 v3, v3
	s_or_b32 s0, s1, s0
	s_wait_alu 0xfffe
	v_add_co_ci_u32_e64 v23, s0, 0, v9, s0
	v_lshlrev_b32_e32 v10, v26, v24
	v_cmp_ne_u32_e64 s0, 0, v13
	v_add_nc_u32_e32 v26, 0xfffffc10, v30
	v_and_or_b32 v17, 0x8000, v27, v17
	v_and_or_b32 v11, 0x1ff, v12, v11
	v_bfe_u32 v28, v12, 20, 11
	s_wait_alu 0xf1ff
	v_cndmask_b32_e64 v13, 0, 1, s0
	v_cmp_ne_u32_e64 s0, v10, v40
	v_cvt_f64_f32_e32 v[9:10], v3
	s_delay_alu instid0(VALU_DEP_3) | instskip(SKIP_1) | instid1(VALU_DEP_3)
	v_lshl_or_b32 v13, v13, 9, 0x7c00
	s_wait_alu 0xf1ff
	v_cndmask_b32_e64 v25, 0, 1, s0
	v_cmp_gt_i32_e64 s0, 31, v22
	s_wait_alu 0xf1ff
	s_delay_alu instid0(VALU_DEP_1)
	v_cndmask_b32_e64 v3, 0x7c00, v23, s0
	v_cmp_ne_u32_e64 s0, 0, v11
	v_or_b32_e32 v23, v24, v25
	v_lshrrev_b32_e32 v25, 8, v12
	v_lshl_or_b32 v24, v26, 12, v15
	s_wait_alu 0xf1ff
	v_cndmask_b32_e64 v11, 0, 1, s0
	v_cmp_eq_u32_e64 s0, 0x40f, v22
	v_mul_f64_e32 v[20:21], s[10:11], v[20:21]
	s_delay_alu instid0(VALU_DEP_3) | instskip(SKIP_1) | instid1(VALU_DEP_3)
	v_and_or_b32 v11, 0xffe, v25, v11
	s_wait_alu 0xf1ff
	v_cndmask_b32_e64 v3, v3, v13, s0
	v_cmp_gt_i32_e64 s0, 1, v26
	v_sub_nc_u32_e32 v13, 0x3f1, v28
	s_delay_alu instid0(VALU_DEP_3) | instskip(SKIP_1) | instid1(VALU_DEP_3)
	v_and_or_b32 v3, 0x8000, v14, v3
	s_wait_alu 0xf1ff
	v_cndmask_b32_e64 v22, v24, v23, s0
	v_or_b32_e32 v23, 0x1000, v11
	v_med3_i32 v13, v13, 0, 13
	v_and_b32_e32 v14, 0xffff, v17
	s_delay_alu instid0(VALU_DEP_4) | instskip(NEXT) | instid1(VALU_DEP_3)
	v_and_b32_e32 v24, 7, v22
	v_lshrrev_b32_e32 v17, v13, v23
	s_delay_alu instid0(VALU_DEP_3) | instskip(SKIP_1) | instid1(VALU_DEP_4)
	v_lshl_or_b32 v3, v3, 16, v14
	v_lshrrev_b32_e32 v14, 2, v22
	v_cmp_lt_i32_e64 s0, 5, v24
	v_cmp_eq_u32_e64 s1, 3, v24
	v_lshlrev_b32_e32 v13, v13, v17
	v_add_nc_u32_e32 v22, 0xfffffc10, v28
	v_mul_f64_e32 v[9:10], s[10:11], v[9:10]
	s_delay_alu instid0(VALU_DEP_4)
	s_or_b32 s0, s1, s0
	s_wait_alu 0xfffe
	v_add_co_ci_u32_e64 v14, s0, 0, v14, s0
	v_cmp_ne_u32_e64 s0, v13, v23
	v_lshrrev_b32_e32 v23, 16, v5
	s_wait_alu 0xf1ff
	s_delay_alu instid0(VALU_DEP_2) | instskip(SKIP_3) | instid1(VALU_DEP_4)
	v_cndmask_b32_e64 v13, 0, 1, s0
	v_cmp_ne_u32_e64 s0, 0, v15
	v_lshrrev_b32_e32 v24, 8, v21
	v_bfe_u32 v25, v21, 20, 11
	v_or_b32_e32 v13, v17, v13
	s_wait_alu 0xf1ff
	v_cndmask_b32_e64 v15, 0, 1, s0
	v_cmp_gt_i32_e64 s0, 31, v26
	v_lshl_or_b32 v17, v22, 12, v11
	s_delay_alu instid0(VALU_DEP_3) | instskip(SKIP_1) | instid1(VALU_DEP_3)
	v_lshl_or_b32 v15, v15, 9, 0x7c00
	s_wait_alu 0xf1ff
	v_cndmask_b32_e64 v14, 0x7c00, v14, s0
	v_cmp_gt_i32_e64 s0, 1, v22
	s_wait_alu 0xf1ff
	s_delay_alu instid0(VALU_DEP_1)
	v_cndmask_b32_e64 v17, v17, v13, s0
	v_and_or_b32 v13, 0x1ff, v21, v20
	v_mul_f16_e32 v20, v39, v23
	v_cmp_eq_u32_e64 s0, 0x40f, v26
	v_sub_nc_u32_e32 v26, 0x3f1, v25
	v_add_nc_u32_e32 v25, 0xfffffc10, v25
	v_lshrrev_b32_e32 v21, 16, v21
	v_fmac_f16_e32 v20, v38, v5
	s_wait_alu 0xf1ff
	v_cndmask_b32_e64 v15, v14, v15, s0
	v_cmp_ne_u32_e64 s0, 0, v13
	v_and_b32_e32 v14, 7, v17
	v_and_or_b32 v9, 0x1ff, v10, v9
	v_cvt_f32_f16_e32 v20, v20
	v_mul_f16_e32 v5, v39, v5
	s_wait_alu 0xf1ff
	v_cndmask_b32_e64 v13, 0, 1, s0
	v_cmp_lt_i32_e64 s0, 5, v14
	v_cmp_eq_u32_e64 s1, 3, v14
	v_fma_f16 v5, v38, v23, -v5
	s_delay_alu instid0(VALU_DEP_4)
	v_and_or_b32 v24, 0xffe, v24, v13
	v_cvt_f64_f32_e32 v[13:14], v20
	v_and_or_b32 v20, 0x8000, v16, v15
	v_lshrrev_b32_e32 v15, 2, v17
	s_or_b32 s0, s1, s0
	v_or_b32_e32 v16, 0x1000, v24
	v_med3_i32 v17, v26, 0, 13
	v_cvt_f32_f16_e32 v5, v5
	s_wait_alu 0xfffe
	v_add_co_ci_u32_e64 v15, s0, 0, v15, s0
	v_cmp_ne_u32_e64 s0, 0, v11
	v_lshrrev_b32_e32 v26, v17, v16
	v_bfe_u32 v23, v10, 20, 11
	v_and_b32_e32 v20, 0xffff, v20
	s_wait_alu 0xf1ff
	v_cndmask_b32_e64 v11, 0, 1, s0
	v_cmp_gt_i32_e64 s0, 31, v22
	s_delay_alu instid0(VALU_DEP_2) | instskip(SKIP_1) | instid1(VALU_DEP_2)
	v_lshl_or_b32 v11, v11, 9, 0x7c00
	s_wait_alu 0xf1ff
	v_cndmask_b32_e64 v27, 0x7c00, v15, s0
	v_lshlrev_b32_e32 v15, v17, v26
	v_cmp_ne_u32_e64 s0, 0, v9
	v_lshrrev_b32_e32 v17, 8, v10
	s_wait_alu 0xf1ff
	s_delay_alu instid0(VALU_DEP_2) | instskip(SKIP_3) | instid1(VALU_DEP_4)
	v_cndmask_b32_e64 v9, 0, 1, s0
	v_cmp_ne_u32_e64 s0, v15, v16
	v_cvt_f64_f32_e32 v[15:16], v5
	v_sub_nc_u32_e32 v5, 0x3f1, v23
	v_and_or_b32 v9, 0xffe, v17, v9
	s_wait_alu 0xf1ff
	v_cndmask_b32_e64 v28, 0, 1, s0
	v_cmp_eq_u32_e64 s0, 0x40f, v22
	v_lshl_or_b32 v22, v25, 12, v24
	v_med3_i32 v5, v5, 0, 13
	s_wait_alu 0xf1ff
	s_delay_alu instid0(VALU_DEP_3)
	v_cndmask_b32_e64 v17, v27, v11, s0
	v_or_b32_e32 v11, v26, v28
	v_cmp_gt_i32_e64 s0, 1, v25
	v_lshrrev_b32_e32 v27, 16, v12
	v_or_b32_e32 v26, 0x1000, v9
	s_wait_alu 0xf1ff
	s_delay_alu instid0(VALU_DEP_3) | instskip(SKIP_1) | instid1(VALU_DEP_3)
	v_cndmask_b32_e64 v22, v22, v11, s0
	v_mul_f64_e32 v[11:12], s[10:11], v[13:14]
	v_lshrrev_b32_e32 v28, v5, v26
	v_add_co_u32 v13, s0, v6, s16
	v_and_or_b32 v17, 0x8000, v27, v17
	v_and_b32_e32 v27, 7, v22
	s_delay_alu instid0(VALU_DEP_4)
	v_lshlrev_b32_e32 v5, v5, v28
	s_wait_alu 0xf1ff
	v_add_co_ci_u32_e64 v14, s0, s17, v7, s0
	s_clause 0x1
	global_store_b32 v[6:7], v0, off
	global_store_b32 v[13:14], v3, off
	v_cmp_ne_u32_e64 s1, v5, v26
	v_cmp_lt_i32_e64 s0, 5, v27
	v_lshrrev_b32_e32 v5, 2, v22
	v_add_nc_u32_e32 v7, 0xfffffc10, v23
	v_lshl_or_b32 v0, v17, 16, v20
	s_wait_alu 0xf1ff
	v_cndmask_b32_e64 v3, 0, 1, s1
	v_cmp_eq_u32_e64 s1, 3, v27
	v_lshrrev_b32_e32 v17, 16, v2
	v_lshl_or_b32 v20, v7, 12, v9
	s_delay_alu instid0(VALU_DEP_4) | instskip(NEXT) | instid1(VALU_DEP_4)
	v_or_b32_e32 v3, v28, v3
	s_or_b32 s0, s1, s0
	s_delay_alu instid0(VALU_DEP_3)
	v_mul_f16_e32 v22, v37, v17
	s_wait_alu 0xfffe
	v_add_co_ci_u32_e64 v23, s0, 0, v5, s0
	v_cmp_gt_i32_e64 s0, 1, v7
	v_mul_f64_e32 v[5:6], s[10:11], v[15:16]
	v_fmac_f16_e32 v22, v36, v2
	s_wait_alu 0xf1ff
	s_delay_alu instid0(VALU_DEP_3)
	v_cndmask_b32_e64 v3, v20, v3, s0
	v_add_co_u32 v13, s0, v13, s16
	s_wait_alu 0xf1ff
	v_add_co_ci_u32_e64 v14, s0, s17, v14, s0
	v_cmp_gt_i32_e64 s0, 31, v25
	v_and_or_b32 v11, 0x1ff, v12, v11
	v_cvt_f32_f16_e32 v15, v22
	v_bfe_u32 v26, v12, 20, 11
	global_store_b32 v[13:14], v0, off
	s_wait_alu 0xf1ff
	v_cndmask_b32_e64 v20, 0x7c00, v23, s0
	v_and_b32_e32 v23, 7, v3
	v_cmp_ne_u32_e64 s0, 0, v24
	v_cmp_ne_u32_e64 s1, 0, v11
	v_lshrrev_b32_e32 v3, 2, v3
	v_cvt_f64_f32_e32 v[15:16], v15
	v_lshrrev_b32_e32 v24, 8, v12
	s_wait_alu 0xf1ff
	v_cndmask_b32_e64 v22, 0, 1, s0
	v_cmp_lt_i32_e64 s0, 5, v23
	v_cndmask_b32_e64 v11, 0, 1, s1
	v_cmp_eq_u32_e64 s1, 3, v23
	v_sub_nc_u32_e32 v23, 0x3f1, v26
	v_lshl_or_b32 v22, v22, 9, 0x7c00
	v_add_nc_u32_e32 v26, 0xfffffc10, v26
	v_and_or_b32 v11, 0xffe, v24, v11
	s_or_b32 s0, s1, s0
	v_med3_i32 v23, v23, 0, 13
	s_wait_alu 0xfffe
	v_add_co_ci_u32_e64 v3, s0, 0, v3, s0
	v_cmp_ne_u32_e64 s0, 0, v9
	v_or_b32_e32 v24, 0x1000, v11
	v_lshrrev_b32_e32 v12, 16, v12
	s_wait_alu 0xf1ff
	s_delay_alu instid0(VALU_DEP_3) | instskip(SKIP_3) | instid1(VALU_DEP_4)
	v_cndmask_b32_e64 v9, 0, 1, s0
	v_cmp_eq_u32_e64 s0, 0x40f, v25
	v_and_or_b32 v5, 0x1ff, v6, v5
	v_mul_f16_e32 v25, v37, v2
	v_lshl_or_b32 v9, v9, 9, 0x7c00
	s_wait_alu 0xf1ff
	v_cndmask_b32_e64 v20, v20, v22, s0
	v_cmp_gt_i32_e64 s0, 31, v7
	v_lshrrev_b32_e32 v22, v23, v24
	s_wait_alu 0xf1ff
	s_delay_alu instid0(VALU_DEP_2) | instskip(SKIP_2) | instid1(VALU_DEP_1)
	v_cndmask_b32_e64 v3, 0x7c00, v3, s0
	v_cmp_eq_u32_e64 s0, 0x40f, v7
	s_wait_alu 0xf1ff
	v_cndmask_b32_e64 v7, v3, v9, s0
	v_cmp_ne_u32_e64 s0, 0, v5
	v_lshlrev_b32_e32 v3, v23, v22
	v_lshrrev_b32_e32 v9, 8, v6
	v_bfe_u32 v23, v6, 20, 11
	s_wait_alu 0xf1ff
	v_cndmask_b32_e64 v5, 0, 1, s0
	v_cmp_ne_u32_e64 s0, v3, v24
	v_mul_f64_e32 v[2:3], s[10:11], v[15:16]
	v_fma_f16 v15, v36, v17, -v25
	s_delay_alu instid0(VALU_DEP_4)
	v_and_or_b32 v5, 0xffe, v9, v5
	v_sub_nc_u32_e32 v9, 0x3f1, v23
	s_wait_alu 0xf1ff
	v_cndmask_b32_e64 v24, 0, 1, s0
	v_cmp_gt_i32_e64 s0, 1, v26
	v_cvt_f32_f16_e32 v15, v15
	v_or_b32_e32 v16, 0x1000, v5
	v_med3_i32 v17, v9, 0, 13
	v_or_b32_e32 v9, v22, v24
	v_lshl_or_b32 v22, v26, 12, v11
	v_lshrrev_b32_e32 v24, 16, v10
	s_delay_alu instid0(VALU_DEP_4) | instskip(SKIP_1) | instid1(VALU_DEP_3)
	v_lshrrev_b32_e32 v25, v17, v16
	s_wait_alu 0xf1ff
	v_cndmask_b32_e64 v22, v22, v9, s0
	v_cvt_f64_f32_e32 v[9:10], v15
	v_and_or_b32 v0, 0x8000, v24, v7
	v_lshlrev_b32_e32 v17, v17, v25
	v_and_or_b32 v15, 0x8000, v21, v20
	v_and_b32_e32 v7, 7, v22
	v_lshrrev_b32_e32 v21, 16, v1
	s_delay_alu instid0(VALU_DEP_4) | instskip(SKIP_1) | instid1(VALU_DEP_4)
	v_cmp_ne_u32_e64 s0, v17, v16
	v_add_nc_u32_e32 v17, 0xfffffc10, v23
	v_cmp_eq_u32_e64 s1, 3, v7
	v_and_b32_e32 v15, 0xffff, v15
	s_wait_alu 0xf1ff
	v_cndmask_b32_e64 v16, 0, 1, s0
	v_cmp_lt_i32_e64 s0, 5, v7
	v_lshrrev_b32_e32 v7, 2, v22
	v_lshl_or_b32 v20, v17, 12, v5
	v_lshl_or_b32 v22, v0, 16, v15
	v_or_b32_e32 v16, v25, v16
	s_or_b32 s0, s1, s0
	s_wait_alu 0xfffe
	v_add_co_ci_u32_e64 v7, s0, 0, v7, s0
	v_cmp_gt_i32_e64 s0, 1, v17
	v_and_or_b32 v2, 0x1ff, v3, v2
	v_bfe_u32 v23, v3, 20, 11
	s_wait_alu 0xf1ff
	s_delay_alu instid0(VALU_DEP_3) | instskip(SKIP_3) | instid1(VALU_DEP_3)
	v_cndmask_b32_e64 v20, v20, v16, s0
	v_mul_f16_e32 v16, v35, v21
	v_cmp_gt_i32_e64 s0, 31, v26
	v_cmp_ne_u32_e64 s2, 0, v2
	v_fmac_f16_e32 v16, v34, v1
	s_wait_alu 0xf1ff
	s_delay_alu instid0(VALU_DEP_3)
	v_cndmask_b32_e64 v0, 0x7c00, v7, s0
	v_and_b32_e32 v7, 7, v20
	v_cmp_ne_u32_e64 s0, 0, v11
	v_lshrrev_b32_e32 v20, 2, v20
	v_cvt_f32_f16_e32 v15, v16
	v_cndmask_b32_e64 v2, 0, 1, s2
	v_cmp_eq_u32_e64 s1, 3, v7
	s_wait_alu 0xf1ff
	v_cndmask_b32_e64 v11, 0, 1, s0
	v_cmp_lt_i32_e64 s0, 5, v7
	v_cvt_f64_f32_e32 v[15:16], v15
	v_lshrrev_b32_e32 v7, 8, v3
	v_mul_f64_e32 v[9:10], s[10:11], v[9:10]
	v_lshl_or_b32 v11, v11, 9, 0x7c00
	s_or_b32 s0, s1, s0
	s_wait_alu 0xfffe
	v_add_co_ci_u32_e64 v20, s0, 0, v20, s0
	v_cmp_ne_u32_e64 s0, 0, v5
	v_and_or_b32 v2, 0xffe, v7, v2
	v_sub_nc_u32_e32 v7, 0x3f1, v23
	s_wait_alu 0xf1ff
	s_delay_alu instid0(VALU_DEP_3) | instskip(SKIP_3) | instid1(VALU_DEP_4)
	v_cndmask_b32_e64 v5, 0, 1, s0
	v_cmp_gt_i32_e64 s0, 31, v17
	v_or_b32_e32 v24, 0x1000, v2
	v_med3_i32 v7, v7, 0, 13
	v_lshl_or_b32 v5, v5, 9, 0x7c00
	s_wait_alu 0xf1ff
	v_cndmask_b32_e64 v20, 0x7c00, v20, s0
	v_cmp_eq_u32_e64 s0, 0x40f, v26
	s_wait_alu 0xf1ff
	s_delay_alu instid0(VALU_DEP_1) | instskip(SKIP_2) | instid1(VALU_DEP_3)
	v_cndmask_b32_e64 v0, v0, v11, s0
	v_lshrrev_b32_e32 v11, v7, v24
	v_cmp_eq_u32_e64 s0, 0x40f, v17
	v_and_or_b32 v12, 0x8000, v12, v0
	s_delay_alu instid0(VALU_DEP_3) | instskip(SKIP_1) | instid1(VALU_DEP_3)
	v_lshlrev_b32_e32 v7, v7, v11
	s_wait_alu 0xf1ff
	v_cndmask_b32_e64 v17, v20, v5, s0
	v_add_co_u32 v5, s0, v13, s16
	v_lshrrev_b32_e32 v20, 16, v6
	s_wait_alu 0xf1ff
	v_add_co_ci_u32_e64 v6, s0, s17, v14, s0
	v_cmp_ne_u32_e64 s0, v7, v24
	v_mul_f16_e32 v13, v35, v1
	v_and_or_b32 v7, 0x8000, v20, v17
	v_add_nc_u32_e32 v17, 0xfffffc10, v23
	v_and_or_b32 v9, 0x1ff, v10, v9
	s_wait_alu 0xf1ff
	v_cndmask_b32_e64 v0, 0, 1, s0
	s_movk_i32 s0, 0xfefc
	s_mov_b32 s1, -1
	v_lshl_or_b32 v14, v17, 12, v2
	s_wait_alu 0xfffe
	s_mul_u64 s[2:3], s[4:5], s[0:1]
	v_or_b32_e32 v11, v11, v0
	v_mul_f64_e32 v[0:1], s[10:11], v[15:16]
	v_fma_f16 v13, v34, v21, -v13
	v_cmp_gt_i32_e64 s0, 1, v17
	v_bfe_u32 v15, v10, 20, 11
	v_and_b32_e32 v16, 0xffff, v12
	v_lshrrev_b32_e32 v21, 16, v4
	s_wait_alu 0xfffe
	s_lshl_b64 s[4:5], s[2:3], 2
	v_cndmask_b32_e64 v14, v14, v11, s0
	v_cmp_ne_u32_e64 s0, 0, v9
	v_cvt_f32_f16_e32 v11, v13
	v_lshrrev_b32_e32 v13, 8, v10
	v_lshl_or_b32 v7, v7, 16, v16
	v_and_b32_e32 v20, 7, v14
	s_wait_alu 0xf1ff
	v_cndmask_b32_e64 v9, 0, 1, s0
	v_cvt_f64_f32_e32 v[11:12], v11
	v_lshrrev_b32_e32 v14, 2, v14
	v_mul_f16_e32 v23, v33, v21
	v_cmp_lt_i32_e64 s0, 5, v20
	v_and_or_b32 v9, 0xffe, v13, v9
	v_sub_nc_u32_e32 v13, 0x3f1, v15
	v_cmp_eq_u32_e64 s1, 3, v20
	v_fmac_f16_e32 v23, v32, v4
	v_mul_f16_e32 v4, v33, v4
	v_or_b32_e32 v16, 0x1000, v9
	v_med3_i32 v13, v13, 0, 13
	s_or_b32 s0, s1, s0
	s_wait_alu 0xfffe
	v_add_co_ci_u32_e64 v14, s0, 0, v14, s0
	s_delay_alu instid0(VALU_DEP_2) | instskip(SKIP_2) | instid1(VALU_DEP_3)
	v_lshrrev_b32_e32 v20, v13, v16
	v_cmp_ne_u32_e64 s0, 0, v2
	v_fma_f16 v4, v32, v21, -v4
	v_lshlrev_b32_e32 v24, v13, v20
	s_wait_alu 0xf1ff
	s_delay_alu instid0(VALU_DEP_3)
	v_cndmask_b32_e64 v2, 0, 1, s0
	v_cvt_f32_f16_e32 v13, v23
	v_cmp_gt_i32_e64 s0, 31, v17
	v_and_or_b32 v0, 0x1ff, v1, v0
	v_cvt_f32_f16_e32 v4, v4
	v_lshl_or_b32 v2, v2, 9, 0x7c00
	s_wait_alu 0xf1ff
	v_cndmask_b32_e64 v23, 0x7c00, v14, s0
	v_cvt_f64_f32_e32 v[13:14], v13
	v_cmp_ne_u32_e64 s0, v24, v16
	v_add_nc_u32_e32 v24, 0xfffffc10, v15
	v_lshrrev_b32_e32 v15, 8, v1
	s_wait_alu 0xf1ff
	s_delay_alu instid0(VALU_DEP_3) | instskip(SKIP_3) | instid1(VALU_DEP_4)
	v_cndmask_b32_e64 v16, 0, 1, s0
	v_cmp_ne_u32_e64 s0, 0, v0
	v_lshl_or_b32 v21, v24, 12, v9
	v_mul_f64_e32 v[11:12], s[10:11], v[11:12]
	v_or_b32_e32 v16, v20, v16
	s_wait_alu 0xf1ff
	v_cndmask_b32_e64 v0, 0, 1, s0
	v_bfe_u32 v20, v1, 20, 11
	v_cmp_gt_i32_e64 s0, 1, v24
	v_lshrrev_b32_e32 v1, 16, v1
	s_delay_alu instid0(VALU_DEP_4) | instskip(NEXT) | instid1(VALU_DEP_4)
	v_and_or_b32 v0, 0xffe, v15, v0
	v_sub_nc_u32_e32 v15, 0x3f1, v20
	s_wait_alu 0xf1ff
	v_cndmask_b32_e64 v21, v21, v16, s0
	v_cmp_eq_u32_e64 s0, 0x40f, v17
	v_lshrrev_b32_e32 v17, 16, v3
	v_or_b32_e32 v25, 0x1000, v0
	v_med3_i32 v26, v15, 0, 13
	v_cvt_f64_f32_e32 v[15:16], v4
	s_wait_alu 0xf1ff
	v_cndmask_b32_e64 v4, v23, v2, s0
	v_and_b32_e32 v23, 7, v21
	v_add_co_u32 v2, s0, v5, s4
	v_lshrrev_b32_e32 v27, v26, v25
	s_wait_alu 0xf1ff
	v_add_co_ci_u32_e64 v3, s0, s5, v6, s0
	v_cmp_lt_i32_e64 s0, 5, v23
	v_cmp_eq_u32_e64 s1, 3, v23
	v_and_or_b32 v4, 0x8000, v17, v4
	v_lshrrev_b32_e32 v17, 2, v21
	v_lshlrev_b32_e32 v26, v26, v27
	v_add_nc_u32_e32 v20, 0xfffffc10, v20
	s_or_b32 s0, s1, s0
	v_mul_f64_e32 v[13:14], s[10:11], v[13:14]
	s_wait_alu 0xfffe
	v_add_co_ci_u32_e64 v17, s0, 0, v17, s0
	v_cmp_ne_u32_e64 s2, v26, v25
	v_cmp_ne_u32_e64 s0, 0, v9
	v_lshl_or_b32 v23, v20, 12, v0
	v_and_b32_e32 v4, 0xffff, v4
	s_wait_alu 0xf1ff
	v_cndmask_b32_e64 v21, 0, 1, s2
	v_cndmask_b32_e64 v9, 0, 1, s0
	v_cmp_gt_i32_e64 s0, 31, v24
	v_and_or_b32 v11, 0x1ff, v12, v11
	v_lshrrev_b32_e32 v25, 8, v12
	v_or_b32_e32 v21, v27, v21
	v_lshl_or_b32 v9, v9, 9, 0x7c00
	s_wait_alu 0xf1ff
	v_cndmask_b32_e64 v17, 0x7c00, v17, s0
	v_cmp_gt_i32_e64 s0, 1, v20
	s_wait_alu 0xf1ff
	s_delay_alu instid0(VALU_DEP_1) | instskip(SKIP_2) | instid1(VALU_DEP_3)
	v_cndmask_b32_e64 v21, v23, v21, s0
	v_cmp_eq_u32_e64 s0, 0x40f, v24
	v_lshrrev_b32_e32 v23, 16, v10
	v_and_b32_e32 v24, 7, v21
	s_wait_alu 0xf1ff
	s_delay_alu instid0(VALU_DEP_3)
	v_cndmask_b32_e64 v17, v17, v9, s0
	v_cmp_ne_u32_e64 s0, 0, v11
	v_mul_f64_e32 v[9:10], s[10:11], v[15:16]
	v_bfe_u32 v15, v12, 20, 11
	v_cmp_eq_u32_e64 s1, 3, v24
	v_and_or_b32 v16, 0x8000, v23, v17
	s_wait_alu 0xf1ff
	v_cndmask_b32_e64 v11, 0, 1, s0
	v_cmp_lt_i32_e64 s0, 5, v24
	v_sub_nc_u32_e32 v17, 0x3f1, v15
	v_add_nc_u32_e32 v15, 0xfffffc10, v15
	v_lshl_or_b32 v4, v16, 16, v4
	v_lshrrev_b32_e32 v16, 2, v21
	v_and_or_b32 v11, 0xffe, v25, v11
	s_or_b32 s0, s1, s0
	v_med3_i32 v17, v17, 0, 13
	v_and_or_b32 v13, 0x1ff, v14, v13
	s_wait_alu 0xfffe
	v_add_co_ci_u32_e64 v16, s0, 0, v16, s0
	v_or_b32_e32 v21, 0x1000, v11
	v_cmp_ne_u32_e64 s0, 0, v0
	v_lshrrev_b32_e32 v24, 8, v14
	v_bfe_u32 v25, v14, 20, 11
	v_lshrrev_b32_e32 v12, 16, v12
	v_lshrrev_b32_e32 v23, v17, v21
	s_wait_alu 0xf1ff
	v_cndmask_b32_e64 v0, 0, 1, s0
	v_cmp_gt_i32_e64 s0, 31, v20
	v_lshrrev_b32_e32 v14, 16, v14
	v_lshlrev_b32_e32 v17, v17, v23
	s_delay_alu instid0(VALU_DEP_4) | instskip(SKIP_4) | instid1(VALU_DEP_1)
	v_lshl_or_b32 v0, v0, 9, 0x7c00
	s_wait_alu 0xf1ff
	v_cndmask_b32_e64 v16, 0x7c00, v16, s0
	v_cmp_ne_u32_e64 s0, 0, v13
	s_wait_alu 0xf1ff
	v_cndmask_b32_e64 v13, 0, 1, s0
	v_cmp_ne_u32_e64 s0, v17, v21
	v_sub_nc_u32_e32 v21, 0x3f1, v25
	v_and_or_b32 v9, 0x1ff, v10, v9
	s_delay_alu instid0(VALU_DEP_4)
	v_and_or_b32 v13, 0xffe, v24, v13
	s_wait_alu 0xf1ff
	v_cndmask_b32_e64 v17, 0, 1, s0
	v_cmp_eq_u32_e64 s0, 0x40f, v20
	v_med3_i32 v21, v21, 0, 13
	v_bfe_u32 v24, v10, 20, 11
	v_or_b32_e32 v20, 0x1000, v13
	s_wait_alu 0xf1ff
	v_cndmask_b32_e64 v0, v16, v0, s0
	v_or_b32_e32 v16, v23, v17
	v_lshl_or_b32 v17, v15, 12, v11
	v_cmp_gt_i32_e64 s0, 1, v15
	v_lshrrev_b32_e32 v23, 8, v10
	v_and_or_b32 v0, 0x8000, v1, v0
	s_wait_alu 0xf1ff
	s_delay_alu instid0(VALU_DEP_3) | instskip(SKIP_3) | instid1(VALU_DEP_4)
	v_cndmask_b32_e64 v16, v17, v16, s0
	v_lshrrev_b32_e32 v17, v21, v20
	v_cmp_ne_u32_e64 s0, 0, v9
	v_and_b32_e32 v0, 0xffff, v0
	v_and_b32_e32 v26, 7, v16
	s_delay_alu instid0(VALU_DEP_4)
	v_lshlrev_b32_e32 v21, v21, v17
	s_wait_alu 0xf1ff
	v_cndmask_b32_e64 v9, 0, 1, s0
	v_lshrrev_b32_e32 v16, 2, v16
	v_cmp_lt_i32_e64 s0, 5, v26
	v_cmp_ne_u32_e64 s1, v21, v20
	s_delay_alu instid0(VALU_DEP_4)
	v_and_or_b32 v1, 0xffe, v23, v9
	v_sub_nc_u32_e32 v9, 0x3f1, v24
	v_add_nc_u32_e32 v23, 0xfffffc10, v25
	s_wait_alu 0xf1ff
	v_cndmask_b32_e64 v20, 0, 1, s1
	v_cmp_eq_u32_e64 s1, 3, v26
	v_or_b32_e32 v21, 0x1000, v1
	v_med3_i32 v9, v9, 0, 13
	v_lshl_or_b32 v25, v23, 12, v13
	v_or_b32_e32 v17, v17, v20
	s_or_b32 s0, s1, s0
	s_wait_alu 0xfffe
	v_add_co_ci_u32_e64 v16, s0, 0, v16, s0
	v_lshrrev_b32_e32 v20, v9, v21
	v_cmp_gt_i32_e64 s0, 1, v23
	s_delay_alu instid0(VALU_DEP_2) | instskip(SKIP_1) | instid1(VALU_DEP_2)
	v_lshlrev_b32_e32 v9, v9, v20
	s_wait_alu 0xf1ff
	v_cndmask_b32_e64 v17, v25, v17, s0
	v_cmp_ne_u32_e64 s0, 0, v11
	s_wait_alu 0xf1ff
	s_delay_alu instid0(VALU_DEP_1) | instskip(SKIP_3) | instid1(VALU_DEP_4)
	v_cndmask_b32_e64 v11, 0, 1, s0
	v_cmp_ne_u32_e64 s0, v9, v21
	v_add_nc_u32_e32 v21, 0xfffffc10, v24
	v_and_b32_e32 v24, 7, v17
	v_lshl_or_b32 v11, v11, 9, 0x7c00
	s_wait_alu 0xf1ff
	v_cndmask_b32_e64 v9, 0, 1, s0
	v_cmp_gt_i32_e64 s0, 31, v15
	v_cmp_gt_i32_e64 s2, 1, v21
	v_cmp_eq_u32_e64 s1, 3, v24
	s_delay_alu instid0(VALU_DEP_4) | instskip(SKIP_4) | instid1(VALU_DEP_3)
	v_or_b32_e32 v9, v20, v9
	v_lshl_or_b32 v20, v21, 12, v1
	s_wait_alu 0xf1ff
	v_cndmask_b32_e64 v16, 0x7c00, v16, s0
	v_cmp_lt_i32_e64 s0, 5, v24
	v_cndmask_b32_e64 v9, v20, v9, s2
	v_cmp_eq_u32_e64 s2, 0x40f, v15
	v_lshrrev_b32_e32 v15, 2, v17
	s_delay_alu instid0(VALU_DEP_4) | instskip(NEXT) | instid1(VALU_DEP_2)
	s_or_b32 s0, s1, s0
	v_cndmask_b32_e64 v11, v16, v11, s2
	s_wait_alu 0xfffe
	s_delay_alu instid0(VALU_DEP_2)
	v_add_co_ci_u32_e64 v15, s0, 0, v15, s0
	v_and_b32_e32 v16, 7, v9
	v_cmp_ne_u32_e64 s0, 0, v13
	v_lshrrev_b32_e32 v9, 2, v9
	v_cmp_gt_i32_e64 s2, 31, v23
	v_and_or_b32 v11, 0x8000, v12, v11
	v_cmp_eq_u32_e64 s1, 3, v16
	s_wait_alu 0xf1ff
	v_cndmask_b32_e64 v13, 0, 1, s0
	v_cmp_lt_i32_e64 s0, 5, v16
	v_cndmask_b32_e64 v15, 0x7c00, v15, s2
	s_delay_alu instid0(VALU_DEP_3) | instskip(NEXT) | instid1(VALU_DEP_3)
	v_lshl_or_b32 v13, v13, 9, 0x7c00
	s_or_b32 s0, s1, s0
	s_wait_alu 0xfffe
	v_add_co_ci_u32_e64 v9, s0, 0, v9, s0
	v_cmp_ne_u32_e64 s0, 0, v1
	s_wait_alu 0xf1ff
	s_delay_alu instid0(VALU_DEP_1) | instskip(SKIP_1) | instid1(VALU_DEP_2)
	v_cndmask_b32_e64 v1, 0, 1, s0
	v_cmp_eq_u32_e64 s0, 0x40f, v23
	v_lshl_or_b32 v1, v1, 9, 0x7c00
	s_wait_alu 0xf1ff
	s_delay_alu instid0(VALU_DEP_2) | instskip(SKIP_1) | instid1(VALU_DEP_2)
	v_cndmask_b32_e64 v13, v15, v13, s0
	v_cmp_gt_i32_e64 s0, 31, v21
	v_and_or_b32 v12, 0x8000, v14, v13
	s_wait_alu 0xf1ff
	s_delay_alu instid0(VALU_DEP_2) | instskip(SKIP_4) | instid1(VALU_DEP_3)
	v_cndmask_b32_e64 v9, 0x7c00, v9, s0
	v_cmp_eq_u32_e64 s0, 0x40f, v21
	v_lshrrev_b32_e32 v13, 16, v10
	v_lshl_or_b32 v14, v11, 16, v0
	s_wait_alu 0xf1ff
	v_cndmask_b32_e64 v1, v9, v1, s0
	v_add_co_u32 v9, s0, v2, s16
	s_wait_alu 0xf1ff
	v_add_co_ci_u32_e64 v10, s0, s17, v3, s0
	s_delay_alu instid0(VALU_DEP_3) | instskip(SKIP_4) | instid1(VALU_DEP_3)
	v_and_or_b32 v0, 0x8000, v13, v1
	v_and_b32_e32 v1, 0xffff, v12
	v_add_co_u32 v11, s0, v9, s16
	s_wait_alu 0xf1ff
	v_add_co_ci_u32_e64 v12, s0, s17, v10, s0
	v_lshl_or_b32 v13, v0, 16, v1
	s_delay_alu instid0(VALU_DEP_3) | instskip(SKIP_1) | instid1(VALU_DEP_3)
	v_add_co_u32 v0, s0, v11, s16
	s_wait_alu 0xf1ff
	v_add_co_ci_u32_e64 v1, s0, s17, v12, s0
	s_clause 0x1
	global_store_b32 v[5:6], v22, off
	global_store_b32 v[2:3], v7, off
	global_store_b32 v[9:10], v4, off
	global_store_b32 v[11:12], v14, off
	global_store_b32 v[0:1], v13, off
	s_and_b32 exec_lo, exec_lo, vcc_lo
	s_cbranch_execz .LBB0_15
; %bb.14:
	s_clause 0x3
	global_load_b32 v6, v[18:19], off offset:320
	global_load_b32 v7, v[18:19], off offset:720
	;; [unrolled: 1-line block ×4, first 2 shown]
	ds_load_2addr_b32 v[2:3], v31 offset0:80 offset1:180
	ds_load_2addr_b32 v[4:5], v8 offset0:24 offset1:124
	v_add_co_u32 v0, vcc_lo, v0, s4
	s_wait_alu 0xfffd
	v_add_co_ci_u32_e32 v1, vcc_lo, s5, v1, vcc_lo
	s_wait_dscnt 0x1
	v_lshrrev_b32_e32 v8, 16, v2
	v_lshrrev_b32_e32 v11, 16, v3
	s_wait_dscnt 0x0
	v_lshrrev_b32_e32 v14, 16, v4
	v_lshrrev_b32_e32 v15, 16, v5
	s_wait_loadcnt 0x3
	v_lshrrev_b32_e32 v9, 16, v6
	s_wait_loadcnt 0x2
	;; [unrolled: 2-line block ×4, first 2 shown]
	v_lshrrev_b32_e32 v18, 16, v12
	v_mul_f16_e32 v13, v8, v9
	v_mul_f16_e32 v9, v2, v9
	;; [unrolled: 1-line block ×3, first 2 shown]
	s_delay_alu instid0(VALU_DEP_3) | instskip(NEXT) | instid1(VALU_DEP_3)
	v_fmac_f16_e32 v13, v2, v6
	v_fma_f16 v2, v6, v8, -v9
	v_mul_f16_e32 v8, v3, v16
	s_delay_alu instid0(VALU_DEP_4)
	v_fmac_f16_e32 v19, v3, v7
	v_mul_f16_e32 v16, v4, v17
	v_cvt_f32_f16_e32 v6, v13
	v_cvt_f32_f16_e32 v9, v2
	v_mul_f16_e32 v13, v14, v17
	v_fma_f16 v8, v7, v11, -v8
	v_cvt_f32_f16_e32 v11, v19
	v_cvt_f64_f32_e32 v[2:3], v6
	v_cvt_f64_f32_e32 v[6:7], v9
	v_fmac_f16_e32 v13, v4, v10
	v_cvt_f32_f16_e32 v4, v8
	v_cvt_f64_f32_e32 v[8:9], v11
	v_mul_f16_e32 v17, v15, v18
	v_fma_f16 v14, v10, v14, -v16
	v_cvt_f32_f16_e32 v13, v13
	v_cvt_f64_f32_e32 v[10:11], v4
	v_mul_f16_e32 v18, v5, v18
	v_fmac_f16_e32 v17, v5, v12
	v_cvt_f32_f16_e32 v14, v14
	v_cvt_f64_f32_e32 v[4:5], v13
	s_delay_alu instid0(VALU_DEP_4) | instskip(NEXT) | instid1(VALU_DEP_4)
	v_fma_f16 v15, v12, v15, -v18
	v_cvt_f32_f16_e32 v16, v17
	s_delay_alu instid0(VALU_DEP_4) | instskip(SKIP_1) | instid1(VALU_DEP_4)
	v_cvt_f64_f32_e32 v[12:13], v14
	v_add_co_u32 v18, vcc_lo, v0, s16
	v_cvt_f32_f16_e32 v17, v15
	s_delay_alu instid0(VALU_DEP_4)
	v_cvt_f64_f32_e32 v[14:15], v16
	s_wait_alu 0xfffd
	v_add_co_ci_u32_e32 v19, vcc_lo, s17, v1, vcc_lo
	v_add_co_u32 v20, vcc_lo, v18, s16
	v_cvt_f64_f32_e32 v[16:17], v17
	s_wait_alu 0xfffd
	s_delay_alu instid0(VALU_DEP_3)
	v_add_co_ci_u32_e32 v21, vcc_lo, s17, v19, vcc_lo
	v_mul_f64_e32 v[2:3], s[10:11], v[2:3]
	v_mul_f64_e32 v[6:7], s[10:11], v[6:7]
	;; [unrolled: 1-line block ×8, first 2 shown]
	v_and_or_b32 v2, 0x1ff, v3, v2
	v_and_or_b32 v6, 0x1ff, v7, v6
	v_lshrrev_b32_e32 v22, 8, v3
	v_bfe_u32 v23, v3, 20, 11
	v_and_or_b32 v8, 0x1ff, v9, v8
	v_cmp_ne_u32_e32 vcc_lo, 0, v2
	v_lshrrev_b32_e32 v24, 8, v7
	v_bfe_u32 v25, v7, 20, 11
	v_and_or_b32 v10, 0x1ff, v11, v10
	v_lshrrev_b32_e32 v26, 8, v9
	s_wait_alu 0xfffd
	v_cndmask_b32_e64 v2, 0, 1, vcc_lo
	v_cmp_ne_u32_e32 vcc_lo, 0, v6
	v_and_or_b32 v4, 0x1ff, v5, v4
	v_bfe_u32 v27, v9, 20, 11
	v_bfe_u32 v29, v11, 20, 11
	v_and_or_b32 v2, 0xffe, v22, v2
	s_wait_alu 0xfffd
	v_cndmask_b32_e64 v6, 0, 1, vcc_lo
	v_cmp_ne_u32_e32 vcc_lo, 0, v8
	v_and_or_b32 v12, 0x1ff, v13, v12
	v_sub_nc_u32_e32 v38, 0x3f1, v23
	v_and_or_b32 v14, 0x1ff, v15, v14
	v_add_nc_u32_e32 v23, 0xfffffc10, v23
	s_wait_alu 0xfffd
	v_cndmask_b32_e64 v8, 0, 1, vcc_lo
	v_cmp_ne_u32_e32 vcc_lo, 0, v10
	v_sub_nc_u32_e32 v39, 0x3f1, v25
	v_and_or_b32 v16, 0x1ff, v17, v16
	v_and_or_b32 v6, 0xffe, v24, v6
	v_lshrrev_b32_e32 v28, 8, v11
	s_wait_alu 0xfffd
	v_cndmask_b32_e64 v10, 0, 1, vcc_lo
	v_cmp_ne_u32_e32 vcc_lo, 0, v4
	v_bfe_u32 v31, v5, 20, 11
	v_bfe_u32 v33, v13, 20, 11
	v_add_nc_u32_e32 v25, 0xfffffc10, v25
	v_sub_nc_u32_e32 v40, 0x3f1, v27
	s_wait_alu 0xfffd
	v_cndmask_b32_e64 v4, 0, 1, vcc_lo
	v_cmp_ne_u32_e32 vcc_lo, 0, v12
	v_sub_nc_u32_e32 v41, 0x3f1, v29
	v_med3_i32 v22, v38, 0, 13
	v_med3_i32 v24, v39, 0, 13
	v_and_or_b32 v8, 0xffe, v26, v8
	s_wait_alu 0xfffd
	v_cndmask_b32_e64 v12, 0, 1, vcc_lo
	v_cmp_ne_u32_e32 vcc_lo, 0, v14
	v_or_b32_e32 v38, 0x1000, v2
	v_lshl_or_b32 v39, v23, 12, v2
	v_lshrrev_b32_e32 v30, 8, v5
	v_lshrrev_b32_e32 v32, 8, v13
	s_wait_alu 0xfffd
	v_cndmask_b32_e64 v14, 0, 1, vcc_lo
	v_cmp_ne_u32_e32 vcc_lo, 0, v16
	v_bfe_u32 v35, v15, 20, 11
	v_bfe_u32 v37, v17, 20, 11
	v_add_nc_u32_e32 v27, 0xfffffc10, v27
	v_sub_nc_u32_e32 v42, 0x3f1, v31
	s_wait_alu 0xfffd
	v_cndmask_b32_e64 v16, 0, 1, vcc_lo
	v_cmp_ne_u32_e32 vcc_lo, 0, v2
	v_sub_nc_u32_e32 v43, 0x3f1, v33
	v_med3_i32 v26, v40, 0, 13
	v_and_or_b32 v10, 0xffe, v28, v10
	v_med3_i32 v28, v41, 0, 13
	s_wait_alu 0xfffd
	v_cndmask_b32_e64 v2, 0, 1, vcc_lo
	v_cmp_ne_u32_e32 vcc_lo, 0, v6
	v_or_b32_e32 v40, 0x1000, v6
	v_lshl_or_b32 v41, v25, 12, v6
	v_lshrrev_b32_e32 v34, 8, v15
	v_lshrrev_b32_e32 v36, 8, v17
	s_wait_alu 0xfffd
	v_cndmask_b32_e64 v6, 0, 1, vcc_lo
	v_cmp_ne_u32_e32 vcc_lo, 0, v8
	v_add_nc_u32_e32 v29, 0xfffffc10, v29
	v_sub_nc_u32_e32 v44, 0x3f1, v35
	v_sub_nc_u32_e32 v45, 0x3f1, v37
	v_and_or_b32 v4, 0xffe, v30, v4
	v_med3_i32 v30, v42, 0, 13
	v_and_or_b32 v12, 0xffe, v32, v12
	v_med3_i32 v32, v43, 0, 13
	v_or_b32_e32 v42, 0x1000, v8
	v_lshl_or_b32 v43, v27, 12, v8
	s_wait_alu 0xfffd
	v_cndmask_b32_e64 v8, 0, 1, vcc_lo
	v_cmp_ne_u32_e32 vcc_lo, 0, v10
	v_add_nc_u32_e32 v31, 0xfffffc10, v31
	v_and_or_b32 v14, 0xffe, v34, v14
	v_med3_i32 v34, v44, 0, 13
	v_and_or_b32 v16, 0xffe, v36, v16
	v_med3_i32 v36, v45, 0, 13
	v_or_b32_e32 v44, 0x1000, v10
	v_lshl_or_b32 v45, v29, 12, v10
	s_wait_alu 0xfffd
	v_cndmask_b32_e64 v10, 0, 1, vcc_lo
	v_cmp_ne_u32_e32 vcc_lo, 0, v4
	v_add_nc_u32_e32 v33, 0xfffffc10, v33
	v_or_b32_e32 v46, 0x1000, v4
	v_lshl_or_b32 v47, v31, 12, v4
	v_add_nc_u32_e32 v35, 0xfffffc10, v35
	s_wait_alu 0xfffd
	v_cndmask_b32_e64 v4, 0, 1, vcc_lo
	v_cmp_ne_u32_e32 vcc_lo, 0, v12
	v_or_b32_e32 v48, 0x1000, v12
	v_lshl_or_b32 v49, v33, 12, v12
	v_lshrrev_b32_e32 v54, v22, v38
	v_add_nc_u32_e32 v37, 0xfffffc10, v37
	s_wait_alu 0xfffd
	v_cndmask_b32_e64 v12, 0, 1, vcc_lo
	v_cmp_ne_u32_e32 vcc_lo, 0, v14
	v_or_b32_e32 v50, 0x1000, v14
	v_lshl_or_b32 v51, v35, 12, v14
	v_lshrrev_b32_e32 v55, v24, v40
	v_lshlrev_b32_e32 v22, v22, v54
	s_wait_alu 0xfffd
	v_cndmask_b32_e64 v14, 0, 1, vcc_lo
	v_cmp_ne_u32_e32 vcc_lo, 0, v16
	v_or_b32_e32 v52, 0x1000, v16
	v_lshl_or_b32 v53, v37, 12, v16
	v_lshrrev_b32_e32 v56, v26, v42
	v_lshlrev_b32_e32 v24, v24, v55
	s_wait_alu 0xfffd
	v_cndmask_b32_e64 v16, 0, 1, vcc_lo
	v_cmp_ne_u32_e32 vcc_lo, v22, v38
	v_lshrrev_b32_e32 v57, v28, v44
	v_lshlrev_b32_e32 v26, v26, v56
	v_lshrrev_b32_e32 v58, v30, v46
	v_lshrrev_b32_e32 v59, v32, v48
	s_wait_alu 0xfffd
	v_cndmask_b32_e64 v22, 0, 1, vcc_lo
	v_cmp_ne_u32_e32 vcc_lo, v24, v40
	v_lshlrev_b32_e32 v28, v28, v57
	v_lshlrev_b32_e32 v30, v30, v58
	v_lshrrev_b32_e32 v60, v34, v50
	v_lshlrev_b32_e32 v32, v32, v59
	s_wait_alu 0xfffd
	v_cndmask_b32_e64 v24, 0, 1, vcc_lo
	v_cmp_ne_u32_e32 vcc_lo, v26, v42
	v_lshrrev_b32_e32 v61, v36, v52
	v_lshlrev_b32_e32 v34, v34, v60
	v_or_b32_e32 v22, v54, v22
	v_or_b32_e32 v24, v55, v24
	s_wait_alu 0xfffd
	v_cndmask_b32_e64 v26, 0, 1, vcc_lo
	v_cmp_ne_u32_e32 vcc_lo, v28, v44
	v_lshlrev_b32_e32 v36, v36, v61
	v_lshl_or_b32 v2, v2, 9, 0x7c00
	v_lshl_or_b32 v6, v6, 9, 0x7c00
	v_or_b32_e32 v26, v56, v26
	s_wait_alu 0xfffd
	v_cndmask_b32_e64 v28, 0, 1, vcc_lo
	v_cmp_ne_u32_e32 vcc_lo, v30, v46
	v_lshl_or_b32 v8, v8, 9, 0x7c00
	v_lshl_or_b32 v10, v10, 9, 0x7c00
	;; [unrolled: 1-line block ×3, first 2 shown]
	v_or_b32_e32 v28, v57, v28
	s_wait_alu 0xfffd
	v_cndmask_b32_e64 v30, 0, 1, vcc_lo
	v_cmp_ne_u32_e32 vcc_lo, v32, v48
	v_lshl_or_b32 v12, v12, 9, 0x7c00
	v_lshl_or_b32 v14, v14, 9, 0x7c00
	v_lshrrev_b32_e32 v3, 16, v3
	v_or_b32_e32 v30, v58, v30
	s_wait_alu 0xfffd
	v_cndmask_b32_e64 v32, 0, 1, vcc_lo
	v_cmp_ne_u32_e32 vcc_lo, v34, v50
	v_lshrrev_b32_e32 v9, 16, v9
	v_lshrrev_b32_e32 v5, 16, v5
	;; [unrolled: 1-line block ×3, first 2 shown]
	v_or_b32_e32 v32, v59, v32
	s_wait_alu 0xfffd
	v_cndmask_b32_e64 v34, 0, 1, vcc_lo
	v_cmp_ne_u32_e32 vcc_lo, v36, v52
	v_lshl_or_b32 v16, v16, 9, 0x7c00
	v_lshrrev_b32_e32 v7, 16, v7
	v_lshrrev_b32_e32 v11, 16, v11
	v_or_b32_e32 v34, v60, v34
	s_wait_alu 0xfffd
	v_cndmask_b32_e64 v36, 0, 1, vcc_lo
	v_cmp_gt_i32_e32 vcc_lo, 1, v23
	v_lshrrev_b32_e32 v13, 16, v13
	v_lshrrev_b32_e32 v17, 16, v17
	s_delay_alu instid0(VALU_DEP_4) | instskip(SKIP_3) | instid1(VALU_DEP_2)
	v_or_b32_e32 v36, v61, v36
	s_wait_alu 0xfffd
	v_cndmask_b32_e32 v22, v39, v22, vcc_lo
	v_cmp_gt_i32_e32 vcc_lo, 1, v25
	v_and_b32_e32 v38, 7, v22
	s_wait_alu 0xfffd
	v_cndmask_b32_e32 v24, v41, v24, vcc_lo
	v_cmp_gt_i32_e32 vcc_lo, 1, v27
	v_lshrrev_b32_e32 v22, 2, v22
	v_cmp_eq_u32_e64 s0, 3, v38
	s_wait_alu 0xfffd
	v_cndmask_b32_e32 v26, v43, v26, vcc_lo
	v_cmp_gt_i32_e32 vcc_lo, 1, v29
	s_delay_alu instid0(VALU_DEP_2)
	v_and_b32_e32 v40, 7, v26
	s_wait_alu 0xfffd
	v_cndmask_b32_e32 v28, v45, v28, vcc_lo
	v_cmp_gt_i32_e32 vcc_lo, 1, v31
	v_lshrrev_b32_e32 v26, 2, v26
	v_cmp_lt_i32_e64 s3, 5, v40
	v_cmp_eq_u32_e64 s4, 3, v40
	s_wait_alu 0xfffd
	v_cndmask_b32_e32 v30, v47, v30, vcc_lo
	v_cmp_gt_i32_e32 vcc_lo, 1, v33
	s_delay_alu instid0(VALU_DEP_2)
	v_and_b32_e32 v42, 7, v30
	s_wait_alu 0xfffd
	v_cndmask_b32_e32 v32, v49, v32, vcc_lo
	v_cmp_gt_i32_e32 vcc_lo, 1, v35
	v_lshrrev_b32_e32 v30, 2, v30
	v_cmp_lt_i32_e64 s7, 5, v42
	v_cmp_eq_u32_e64 s8, 3, v42
	s_wait_alu 0xfffd
	v_cndmask_b32_e32 v34, v51, v34, vcc_lo
	v_cmp_gt_i32_e32 vcc_lo, 1, v37
	s_delay_alu instid0(VALU_DEP_2)
	v_and_b32_e32 v44, 7, v34
	s_wait_alu 0xfffd
	v_cndmask_b32_e32 v36, v53, v36, vcc_lo
	v_cmp_lt_i32_e32 vcc_lo, 5, v38
	v_lshrrev_b32_e32 v34, 2, v34
	v_cmp_lt_i32_e64 s11, 5, v44
	v_cmp_eq_u32_e64 s12, 3, v44
	s_or_b32 vcc_lo, s0, vcc_lo
	s_wait_alu 0xfffe
	v_add_co_ci_u32_e32 v22, vcc_lo, 0, v22, vcc_lo
	v_and_b32_e32 v39, 7, v24
	v_lshrrev_b32_e32 v24, 2, v24
	s_delay_alu instid0(VALU_DEP_2) | instskip(SKIP_1) | instid1(VALU_DEP_1)
	v_cmp_lt_i32_e64 s1, 5, v39
	v_cmp_eq_u32_e64 s2, 3, v39
	s_or_b32 vcc_lo, s2, s1
	s_wait_alu 0xfffe
	v_add_co_ci_u32_e32 v24, vcc_lo, 0, v24, vcc_lo
	s_or_b32 vcc_lo, s4, s3
	s_wait_alu 0xfffe
	v_add_co_ci_u32_e32 v26, vcc_lo, 0, v26, vcc_lo
	v_and_b32_e32 v41, 7, v28
	v_lshrrev_b32_e32 v28, 2, v28
	s_delay_alu instid0(VALU_DEP_2) | instskip(SKIP_1) | instid1(VALU_DEP_1)
	v_cmp_lt_i32_e64 s5, 5, v41
	v_cmp_eq_u32_e64 s6, 3, v41
	s_or_b32 vcc_lo, s6, s5
	s_wait_alu 0xfffe
	v_add_co_ci_u32_e32 v28, vcc_lo, 0, v28, vcc_lo
	s_or_b32 vcc_lo, s8, s7
	;; [unrolled: 11-line block ×3, first 2 shown]
	s_wait_alu 0xfffe
	v_add_co_ci_u32_e32 v34, vcc_lo, 0, v34, vcc_lo
	v_and_b32_e32 v45, 7, v36
	v_lshrrev_b32_e32 v36, 2, v36
	s_delay_alu instid0(VALU_DEP_2) | instskip(SKIP_1) | instid1(VALU_DEP_1)
	v_cmp_lt_i32_e64 s13, 5, v45
	v_cmp_eq_u32_e64 s14, 3, v45
	s_or_b32 vcc_lo, s14, s13
	s_wait_alu 0xfffe
	v_add_co_ci_u32_e32 v36, vcc_lo, 0, v36, vcc_lo
	v_cmp_gt_i32_e32 vcc_lo, 31, v23
	s_wait_alu 0xfffd
	v_cndmask_b32_e32 v22, 0x7c00, v22, vcc_lo
	v_cmp_gt_i32_e32 vcc_lo, 31, v25
	s_wait_alu 0xfffd
	v_cndmask_b32_e32 v24, 0x7c00, v24, vcc_lo
	;; [unrolled: 3-line block ×8, first 2 shown]
	v_cmp_eq_u32_e32 vcc_lo, 0x40f, v23
	s_wait_alu 0xfffd
	v_cndmask_b32_e32 v2, v22, v2, vcc_lo
	v_cmp_eq_u32_e32 vcc_lo, 0x40f, v25
	s_delay_alu instid0(VALU_DEP_2) | instskip(SKIP_3) | instid1(VALU_DEP_2)
	v_and_or_b32 v2, 0x8000, v3, v2
	s_wait_alu 0xfffd
	v_cndmask_b32_e32 v6, v24, v6, vcc_lo
	v_cmp_eq_u32_e32 vcc_lo, 0x40f, v27
	v_and_or_b32 v6, 0x8000, v7, v6
	s_wait_alu 0xfffd
	v_cndmask_b32_e32 v8, v26, v8, vcc_lo
	v_cmp_eq_u32_e32 vcc_lo, 0x40f, v29
	s_delay_alu instid0(VALU_DEP_2) | instskip(SKIP_3) | instid1(VALU_DEP_2)
	v_and_or_b32 v3, 0x8000, v9, v8
	s_wait_alu 0xfffd
	v_cndmask_b32_e32 v10, v28, v10, vcc_lo
	v_cmp_eq_u32_e32 vcc_lo, 0x40f, v31
	v_and_or_b32 v7, 0x8000, v11, v10
	s_wait_alu 0xfffd
	v_dual_cndmask_b32 v4, v30, v4 :: v_dual_and_b32 v11, 0xffff, v3
	v_cmp_eq_u32_e32 vcc_lo, 0x40f, v33
	v_and_b32_e32 v10, 0xffff, v2
	s_delay_alu instid0(VALU_DEP_3) | instskip(NEXT) | instid1(VALU_DEP_4)
	v_lshl_or_b32 v7, v7, 16, v11
	v_and_or_b32 v4, 0x8000, v5, v4
	s_wait_alu 0xfffd
	v_cndmask_b32_e32 v12, v32, v12, vcc_lo
	v_cmp_eq_u32_e32 vcc_lo, 0x40f, v35
	v_lshl_or_b32 v6, v6, 16, v10
	v_and_b32_e32 v4, 0xffff, v4
	s_delay_alu instid0(VALU_DEP_4) | instskip(SKIP_3) | instid1(VALU_DEP_3)
	v_and_or_b32 v5, 0x8000, v13, v12
	s_wait_alu 0xfffd
	v_cndmask_b32_e32 v14, v34, v14, vcc_lo
	v_cmp_eq_u32_e32 vcc_lo, 0x40f, v37
	v_lshl_or_b32 v4, v5, 16, v4
	s_delay_alu instid0(VALU_DEP_3)
	v_and_or_b32 v8, 0x8000, v15, v14
	s_wait_alu 0xfffd
	v_cndmask_b32_e32 v16, v36, v16, vcc_lo
	v_add_co_u32 v2, vcc_lo, v20, s16
	s_wait_alu 0xfffd
	v_add_co_ci_u32_e32 v3, vcc_lo, s17, v21, vcc_lo
	s_delay_alu instid0(VALU_DEP_3) | instskip(SKIP_1) | instid1(VALU_DEP_1)
	v_and_or_b32 v9, 0x8000, v17, v16
	v_and_b32_e32 v8, 0xffff, v8
	v_lshl_or_b32 v5, v9, 16, v8
	global_store_b32 v[0:1], v6, off
	global_store_b32 v[18:19], v7, off
	;; [unrolled: 1-line block ×4, first 2 shown]
.LBB0_15:
	s_nop 0
	s_sendmsg sendmsg(MSG_DEALLOC_VGPRS)
	s_endpgm
	.section	.rodata,"a",@progbits
	.p2align	6, 0x0
	.amdhsa_kernel bluestein_single_fwd_len400_dim1_half_op_CI_CI
		.amdhsa_group_segment_fixed_size 4800
		.amdhsa_private_segment_fixed_size 0
		.amdhsa_kernarg_size 104
		.amdhsa_user_sgpr_count 2
		.amdhsa_user_sgpr_dispatch_ptr 0
		.amdhsa_user_sgpr_queue_ptr 0
		.amdhsa_user_sgpr_kernarg_segment_ptr 1
		.amdhsa_user_sgpr_dispatch_id 0
		.amdhsa_user_sgpr_private_segment_size 0
		.amdhsa_wavefront_size32 1
		.amdhsa_uses_dynamic_stack 0
		.amdhsa_enable_private_segment 0
		.amdhsa_system_sgpr_workgroup_id_x 1
		.amdhsa_system_sgpr_workgroup_id_y 0
		.amdhsa_system_sgpr_workgroup_id_z 0
		.amdhsa_system_sgpr_workgroup_info 0
		.amdhsa_system_vgpr_workitem_id 0
		.amdhsa_next_free_vgpr 120
		.amdhsa_next_free_sgpr 18
		.amdhsa_reserve_vcc 1
		.amdhsa_float_round_mode_32 0
		.amdhsa_float_round_mode_16_64 0
		.amdhsa_float_denorm_mode_32 3
		.amdhsa_float_denorm_mode_16_64 3
		.amdhsa_fp16_overflow 0
		.amdhsa_workgroup_processor_mode 1
		.amdhsa_memory_ordered 1
		.amdhsa_forward_progress 0
		.amdhsa_round_robin_scheduling 0
		.amdhsa_exception_fp_ieee_invalid_op 0
		.amdhsa_exception_fp_denorm_src 0
		.amdhsa_exception_fp_ieee_div_zero 0
		.amdhsa_exception_fp_ieee_overflow 0
		.amdhsa_exception_fp_ieee_underflow 0
		.amdhsa_exception_fp_ieee_inexact 0
		.amdhsa_exception_int_div_zero 0
	.end_amdhsa_kernel
	.text
.Lfunc_end0:
	.size	bluestein_single_fwd_len400_dim1_half_op_CI_CI, .Lfunc_end0-bluestein_single_fwd_len400_dim1_half_op_CI_CI
                                        ; -- End function
	.section	.AMDGPU.csdata,"",@progbits
; Kernel info:
; codeLenInByte = 17248
; NumSgprs: 20
; NumVgprs: 120
; ScratchSize: 0
; MemoryBound: 0
; FloatMode: 240
; IeeeMode: 1
; LDSByteSize: 4800 bytes/workgroup (compile time only)
; SGPRBlocks: 2
; VGPRBlocks: 14
; NumSGPRsForWavesPerEU: 20
; NumVGPRsForWavesPerEU: 120
; Occupancy: 12
; WaveLimiterHint : 1
; COMPUTE_PGM_RSRC2:SCRATCH_EN: 0
; COMPUTE_PGM_RSRC2:USER_SGPR: 2
; COMPUTE_PGM_RSRC2:TRAP_HANDLER: 0
; COMPUTE_PGM_RSRC2:TGID_X_EN: 1
; COMPUTE_PGM_RSRC2:TGID_Y_EN: 0
; COMPUTE_PGM_RSRC2:TGID_Z_EN: 0
; COMPUTE_PGM_RSRC2:TIDIG_COMP_CNT: 0
	.text
	.p2alignl 7, 3214868480
	.fill 96, 4, 3214868480
	.type	__hip_cuid_c1e5fa217a767968,@object ; @__hip_cuid_c1e5fa217a767968
	.section	.bss,"aw",@nobits
	.globl	__hip_cuid_c1e5fa217a767968
__hip_cuid_c1e5fa217a767968:
	.byte	0                               ; 0x0
	.size	__hip_cuid_c1e5fa217a767968, 1

	.ident	"AMD clang version 19.0.0git (https://github.com/RadeonOpenCompute/llvm-project roc-6.4.0 25133 c7fe45cf4b819c5991fe208aaa96edf142730f1d)"
	.section	".note.GNU-stack","",@progbits
	.addrsig
	.addrsig_sym __hip_cuid_c1e5fa217a767968
	.amdgpu_metadata
---
amdhsa.kernels:
  - .args:
      - .actual_access:  read_only
        .address_space:  global
        .offset:         0
        .size:           8
        .value_kind:     global_buffer
      - .actual_access:  read_only
        .address_space:  global
        .offset:         8
        .size:           8
        .value_kind:     global_buffer
      - .actual_access:  read_only
        .address_space:  global
        .offset:         16
        .size:           8
        .value_kind:     global_buffer
      - .actual_access:  read_only
        .address_space:  global
        .offset:         24
        .size:           8
        .value_kind:     global_buffer
      - .actual_access:  read_only
        .address_space:  global
        .offset:         32
        .size:           8
        .value_kind:     global_buffer
      - .offset:         40
        .size:           8
        .value_kind:     by_value
      - .address_space:  global
        .offset:         48
        .size:           8
        .value_kind:     global_buffer
      - .address_space:  global
        .offset:         56
        .size:           8
        .value_kind:     global_buffer
      - .address_space:  global
        .offset:         64
        .size:           8
        .value_kind:     global_buffer
      - .address_space:  global
        .offset:         72
        .size:           8
        .value_kind:     global_buffer
      - .offset:         80
        .size:           4
        .value_kind:     by_value
      - .address_space:  global
        .offset:         88
        .size:           8
        .value_kind:     global_buffer
      - .address_space:  global
        .offset:         96
        .size:           8
        .value_kind:     global_buffer
    .group_segment_fixed_size: 4800
    .kernarg_segment_align: 8
    .kernarg_segment_size: 104
    .language:       OpenCL C
    .language_version:
      - 2
      - 0
    .max_flat_workgroup_size: 120
    .name:           bluestein_single_fwd_len400_dim1_half_op_CI_CI
    .private_segment_fixed_size: 0
    .sgpr_count:     20
    .sgpr_spill_count: 0
    .symbol:         bluestein_single_fwd_len400_dim1_half_op_CI_CI.kd
    .uniform_work_group_size: 1
    .uses_dynamic_stack: false
    .vgpr_count:     120
    .vgpr_spill_count: 0
    .wavefront_size: 32
    .workgroup_processor_mode: 1
amdhsa.target:   amdgcn-amd-amdhsa--gfx1201
amdhsa.version:
  - 1
  - 2
...

	.end_amdgpu_metadata
